;; amdgpu-corpus repo=ROCm/rocFFT kind=compiled arch=gfx906 opt=O3
	.text
	.amdgcn_target "amdgcn-amd-amdhsa--gfx906"
	.amdhsa_code_object_version 6
	.protected	fft_rtc_fwd_len1248_factors_2_2_13_2_3_2_2_wgs_52_tpt_52_halfLds_half_op_CI_CI_unitstride_sbrr_C2R_dirReg ; -- Begin function fft_rtc_fwd_len1248_factors_2_2_13_2_3_2_2_wgs_52_tpt_52_halfLds_half_op_CI_CI_unitstride_sbrr_C2R_dirReg
	.globl	fft_rtc_fwd_len1248_factors_2_2_13_2_3_2_2_wgs_52_tpt_52_halfLds_half_op_CI_CI_unitstride_sbrr_C2R_dirReg
	.p2align	8
	.type	fft_rtc_fwd_len1248_factors_2_2_13_2_3_2_2_wgs_52_tpt_52_halfLds_half_op_CI_CI_unitstride_sbrr_C2R_dirReg,@function
fft_rtc_fwd_len1248_factors_2_2_13_2_3_2_2_wgs_52_tpt_52_halfLds_half_op_CI_CI_unitstride_sbrr_C2R_dirReg: ; @fft_rtc_fwd_len1248_factors_2_2_13_2_3_2_2_wgs_52_tpt_52_halfLds_half_op_CI_CI_unitstride_sbrr_C2R_dirReg
; %bb.0:
	s_load_dwordx4 s[8:11], s[4:5], 0x58
	s_load_dwordx4 s[12:15], s[4:5], 0x0
	;; [unrolled: 1-line block ×3, first 2 shown]
	v_mul_u32_u24_e32 v1, 0x4ed, v0
	v_add_u32_sdwa v5, s6, v1 dst_sel:DWORD dst_unused:UNUSED_PAD src0_sel:DWORD src1_sel:WORD_1
	v_mov_b32_e32 v3, 0
	s_waitcnt lgkmcnt(0)
	v_cmp_lt_u64_e64 s[0:1], s[14:15], 2
	v_mov_b32_e32 v1, 0
	v_mov_b32_e32 v6, v3
	s_and_b64 vcc, exec, s[0:1]
	v_mov_b32_e32 v2, 0
	s_cbranch_vccnz .LBB0_8
; %bb.1:
	s_load_dwordx2 s[0:1], s[4:5], 0x10
	s_add_u32 s2, s18, 8
	s_addc_u32 s3, s19, 0
	s_add_u32 s6, s16, 8
	v_mov_b32_e32 v1, 0
	s_addc_u32 s7, s17, 0
	v_mov_b32_e32 v2, 0
	s_waitcnt lgkmcnt(0)
	s_add_u32 s20, s0, 8
	v_mov_b32_e32 v13, v2
	s_addc_u32 s21, s1, 0
	s_mov_b64 s[22:23], 1
	v_mov_b32_e32 v12, v1
.LBB0_2:                                ; =>This Inner Loop Header: Depth=1
	s_load_dwordx2 s[24:25], s[20:21], 0x0
                                        ; implicit-def: $vgpr16_vgpr17
	s_waitcnt lgkmcnt(0)
	v_or_b32_e32 v4, s25, v6
	v_cmp_ne_u64_e32 vcc, 0, v[3:4]
	s_and_saveexec_b64 s[0:1], vcc
	s_xor_b64 s[26:27], exec, s[0:1]
	s_cbranch_execz .LBB0_4
; %bb.3:                                ;   in Loop: Header=BB0_2 Depth=1
	v_cvt_f32_u32_e32 v4, s24
	v_cvt_f32_u32_e32 v7, s25
	s_sub_u32 s0, 0, s24
	s_subb_u32 s1, 0, s25
	v_mac_f32_e32 v4, 0x4f800000, v7
	v_rcp_f32_e32 v4, v4
	v_mul_f32_e32 v4, 0x5f7ffffc, v4
	v_mul_f32_e32 v7, 0x2f800000, v4
	v_trunc_f32_e32 v7, v7
	v_mac_f32_e32 v4, 0xcf800000, v7
	v_cvt_u32_f32_e32 v7, v7
	v_cvt_u32_f32_e32 v4, v4
	v_mul_lo_u32 v8, s0, v7
	v_mul_hi_u32 v9, s0, v4
	v_mul_lo_u32 v11, s1, v4
	v_mul_lo_u32 v10, s0, v4
	v_add_u32_e32 v8, v9, v8
	v_add_u32_e32 v8, v8, v11
	v_mul_hi_u32 v9, v4, v10
	v_mul_lo_u32 v11, v4, v8
	v_mul_hi_u32 v15, v4, v8
	v_mul_hi_u32 v14, v7, v10
	v_mul_lo_u32 v10, v7, v10
	v_mul_hi_u32 v16, v7, v8
	v_add_co_u32_e32 v9, vcc, v9, v11
	v_addc_co_u32_e32 v11, vcc, 0, v15, vcc
	v_mul_lo_u32 v8, v7, v8
	v_add_co_u32_e32 v9, vcc, v9, v10
	v_addc_co_u32_e32 v9, vcc, v11, v14, vcc
	v_addc_co_u32_e32 v10, vcc, 0, v16, vcc
	v_add_co_u32_e32 v8, vcc, v9, v8
	v_addc_co_u32_e32 v9, vcc, 0, v10, vcc
	v_add_co_u32_e32 v4, vcc, v4, v8
	v_addc_co_u32_e32 v7, vcc, v7, v9, vcc
	v_mul_lo_u32 v8, s0, v7
	v_mul_hi_u32 v9, s0, v4
	v_mul_lo_u32 v10, s1, v4
	v_mul_lo_u32 v11, s0, v4
	v_add_u32_e32 v8, v9, v8
	v_add_u32_e32 v8, v8, v10
	v_mul_lo_u32 v14, v4, v8
	v_mul_hi_u32 v15, v4, v11
	v_mul_hi_u32 v16, v4, v8
	v_mul_hi_u32 v10, v7, v11
	v_mul_lo_u32 v11, v7, v11
	v_mul_hi_u32 v9, v7, v8
	v_add_co_u32_e32 v14, vcc, v15, v14
	v_addc_co_u32_e32 v15, vcc, 0, v16, vcc
	v_mul_lo_u32 v8, v7, v8
	v_add_co_u32_e32 v11, vcc, v14, v11
	v_addc_co_u32_e32 v10, vcc, v15, v10, vcc
	v_addc_co_u32_e32 v9, vcc, 0, v9, vcc
	v_add_co_u32_e32 v8, vcc, v10, v8
	v_addc_co_u32_e32 v9, vcc, 0, v9, vcc
	v_add_co_u32_e32 v4, vcc, v4, v8
	v_addc_co_u32_e32 v9, vcc, v7, v9, vcc
	v_mad_u64_u32 v[7:8], s[0:1], v5, v9, 0
	v_mul_hi_u32 v10, v5, v4
	v_add_co_u32_e32 v11, vcc, v10, v7
	v_addc_co_u32_e32 v14, vcc, 0, v8, vcc
	v_mad_u64_u32 v[7:8], s[0:1], v6, v4, 0
	v_mad_u64_u32 v[9:10], s[0:1], v6, v9, 0
	v_add_co_u32_e32 v4, vcc, v11, v7
	v_addc_co_u32_e32 v4, vcc, v14, v8, vcc
	v_addc_co_u32_e32 v7, vcc, 0, v10, vcc
	v_add_co_u32_e32 v4, vcc, v4, v9
	v_addc_co_u32_e32 v9, vcc, 0, v7, vcc
	v_mul_lo_u32 v10, s25, v4
	v_mul_lo_u32 v11, s24, v9
	v_mad_u64_u32 v[7:8], s[0:1], s24, v4, 0
	v_add3_u32 v8, v8, v11, v10
	v_sub_u32_e32 v10, v6, v8
	v_mov_b32_e32 v11, s25
	v_sub_co_u32_e32 v7, vcc, v5, v7
	v_subb_co_u32_e64 v10, s[0:1], v10, v11, vcc
	v_subrev_co_u32_e64 v11, s[0:1], s24, v7
	v_subbrev_co_u32_e64 v10, s[0:1], 0, v10, s[0:1]
	v_cmp_le_u32_e64 s[0:1], s25, v10
	v_cndmask_b32_e64 v14, 0, -1, s[0:1]
	v_cmp_le_u32_e64 s[0:1], s24, v11
	v_cndmask_b32_e64 v11, 0, -1, s[0:1]
	v_cmp_eq_u32_e64 s[0:1], s25, v10
	v_cndmask_b32_e64 v10, v14, v11, s[0:1]
	v_add_co_u32_e64 v11, s[0:1], 2, v4
	v_addc_co_u32_e64 v14, s[0:1], 0, v9, s[0:1]
	v_add_co_u32_e64 v15, s[0:1], 1, v4
	v_addc_co_u32_e64 v16, s[0:1], 0, v9, s[0:1]
	v_subb_co_u32_e32 v8, vcc, v6, v8, vcc
	v_cmp_ne_u32_e64 s[0:1], 0, v10
	v_cmp_le_u32_e32 vcc, s25, v8
	v_cndmask_b32_e64 v10, v16, v14, s[0:1]
	v_cndmask_b32_e64 v14, 0, -1, vcc
	v_cmp_le_u32_e32 vcc, s24, v7
	v_cndmask_b32_e64 v7, 0, -1, vcc
	v_cmp_eq_u32_e32 vcc, s25, v8
	v_cndmask_b32_e32 v7, v14, v7, vcc
	v_cmp_ne_u32_e32 vcc, 0, v7
	v_cndmask_b32_e64 v7, v15, v11, s[0:1]
	v_cndmask_b32_e32 v17, v9, v10, vcc
	v_cndmask_b32_e32 v16, v4, v7, vcc
.LBB0_4:                                ;   in Loop: Header=BB0_2 Depth=1
	s_andn2_saveexec_b64 s[0:1], s[26:27]
	s_cbranch_execz .LBB0_6
; %bb.5:                                ;   in Loop: Header=BB0_2 Depth=1
	v_cvt_f32_u32_e32 v4, s24
	s_sub_i32 s26, 0, s24
	v_mov_b32_e32 v17, v3
	v_rcp_iflag_f32_e32 v4, v4
	v_mul_f32_e32 v4, 0x4f7ffffe, v4
	v_cvt_u32_f32_e32 v4, v4
	v_mul_lo_u32 v7, s26, v4
	v_mul_hi_u32 v7, v4, v7
	v_add_u32_e32 v4, v4, v7
	v_mul_hi_u32 v4, v5, v4
	v_mul_lo_u32 v7, v4, s24
	v_add_u32_e32 v8, 1, v4
	v_sub_u32_e32 v7, v5, v7
	v_subrev_u32_e32 v9, s24, v7
	v_cmp_le_u32_e32 vcc, s24, v7
	v_cndmask_b32_e32 v7, v7, v9, vcc
	v_cndmask_b32_e32 v4, v4, v8, vcc
	v_add_u32_e32 v8, 1, v4
	v_cmp_le_u32_e32 vcc, s24, v7
	v_cndmask_b32_e32 v16, v4, v8, vcc
.LBB0_6:                                ;   in Loop: Header=BB0_2 Depth=1
	s_or_b64 exec, exec, s[0:1]
	v_mul_lo_u32 v4, v17, s24
	v_mul_lo_u32 v9, v16, s25
	v_mad_u64_u32 v[7:8], s[0:1], v16, s24, 0
	s_load_dwordx2 s[0:1], s[6:7], 0x0
	s_load_dwordx2 s[24:25], s[2:3], 0x0
	v_add3_u32 v4, v8, v9, v4
	v_sub_co_u32_e32 v5, vcc, v5, v7
	v_subb_co_u32_e32 v4, vcc, v6, v4, vcc
	s_waitcnt lgkmcnt(0)
	v_mul_lo_u32 v6, s0, v4
	v_mul_lo_u32 v7, s1, v5
	v_mad_u64_u32 v[1:2], s[0:1], s0, v5, v[1:2]
	v_mul_lo_u32 v4, s24, v4
	v_mul_lo_u32 v8, s25, v5
	v_mad_u64_u32 v[12:13], s[0:1], s24, v5, v[12:13]
	s_add_u32 s22, s22, 1
	s_addc_u32 s23, s23, 0
	s_add_u32 s2, s2, 8
	v_add3_u32 v13, v8, v13, v4
	s_addc_u32 s3, s3, 0
	v_mov_b32_e32 v4, s14
	s_add_u32 s6, s6, 8
	v_mov_b32_e32 v5, s15
	s_addc_u32 s7, s7, 0
	v_cmp_ge_u64_e32 vcc, s[22:23], v[4:5]
	s_add_u32 s20, s20, 8
	v_add3_u32 v2, v7, v2, v6
	s_addc_u32 s21, s21, 0
	s_cbranch_vccnz .LBB0_9
; %bb.7:                                ;   in Loop: Header=BB0_2 Depth=1
	v_mov_b32_e32 v5, v16
	v_mov_b32_e32 v6, v17
	s_branch .LBB0_2
.LBB0_8:
	v_mov_b32_e32 v13, v2
	v_mov_b32_e32 v17, v6
	;; [unrolled: 1-line block ×4, first 2 shown]
.LBB0_9:
	s_load_dwordx2 s[4:5], s[4:5], 0x28
	s_lshl_b64 s[6:7], s[14:15], 3
	s_add_u32 s2, s18, s6
	s_addc_u32 s3, s19, s7
                                        ; implicit-def: $vgpr14
                                        ; implicit-def: $vgpr3_vgpr4
	s_waitcnt lgkmcnt(0)
	v_cmp_gt_u64_e64 s[0:1], s[4:5], v[16:17]
	v_cmp_le_u64_e32 vcc, s[4:5], v[16:17]
	s_and_saveexec_b64 s[4:5], vcc
	s_xor_b64 s[4:5], exec, s[4:5]
; %bb.10:
	s_mov_b32 s14, 0x4ec4ec5
	v_mul_hi_u32 v1, v0, s14
	v_mov_b32_e32 v15, 0
	v_mul_u32_u24_e32 v1, 52, v1
	v_sub_u32_e32 v14, v0, v1
	v_mov_b32_e32 v3, v14
	v_mov_b32_e32 v4, v15
                                        ; implicit-def: $vgpr0
                                        ; implicit-def: $vgpr1_vgpr2
; %bb.11:
	s_or_saveexec_b64 s[4:5], s[4:5]
	s_load_dwordx2 s[2:3], s[2:3], 0x0
	s_xor_b64 exec, exec, s[4:5]
	s_cbranch_execz .LBB0_15
; %bb.12:
	s_add_u32 s6, s16, s6
	s_addc_u32 s7, s17, s7
	s_load_dwordx2 s[6:7], s[6:7], 0x0
	s_mov_b32 s14, 0x4ec4ec5
	v_mul_hi_u32 v5, v0, s14
	v_lshlrev_b64 v[1:2], 2, v[1:2]
	v_mov_b32_e32 v15, 0
	s_waitcnt lgkmcnt(0)
	v_mul_lo_u32 v6, s7, v16
	v_mul_lo_u32 v7, s6, v17
	v_mad_u64_u32 v[3:4], s[6:7], s6, v16, 0
	v_mul_u32_u24_e32 v5, 52, v5
	v_sub_u32_e32 v14, v0, v5
	v_add3_u32 v4, v4, v7, v6
	v_lshlrev_b64 v[3:4], 2, v[3:4]
	v_mov_b32_e32 v0, s9
	v_add_co_u32_e32 v3, vcc, s8, v3
	v_addc_co_u32_e32 v0, vcc, v0, v4, vcc
	v_add_co_u32_e32 v1, vcc, v3, v1
	v_addc_co_u32_e32 v0, vcc, v0, v2, vcc
	v_lshlrev_b32_e32 v6, 2, v14
	v_add_co_u32_e32 v2, vcc, v1, v6
	v_addc_co_u32_e32 v3, vcc, 0, v0, vcc
	s_movk_i32 s6, 0x1000
	v_add_co_u32_e32 v4, vcc, s6, v2
	global_load_dword v7, v[2:3], off offset:1040
	global_load_dword v8, v[2:3], off offset:1248
	;; [unrolled: 1-line block ×11, first 2 shown]
	global_load_dword v24, v[2:3], off
	global_load_dword v25, v[2:3], off offset:208
	global_load_dword v26, v[2:3], off offset:416
	;; [unrolled: 1-line block ×4, first 2 shown]
	v_addc_co_u32_e32 v5, vcc, 0, v3, vcc
	global_load_dword v29, v[2:3], off offset:3328
	global_load_dword v30, v[2:3], off offset:3536
	;; [unrolled: 1-line block ×8, first 2 shown]
	v_add_u32_e32 v2, 0, v6
	v_add_u32_e32 v3, 0x200, v2
	;; [unrolled: 1-line block ×7, first 2 shown]
	v_cmp_eq_u32_e32 vcc, 51, v14
	s_waitcnt vmcnt(9)
	ds_write2_b32 v3, v27, v7 offset0:80 offset1:132
	ds_write2_b32 v4, v8, v9 offset0:56 offset1:108
	;; [unrolled: 1-line block ×3, first 2 shown]
	ds_write2_b32 v2, v24, v25 offset1:52
	ds_write2_b32 v5, v18, v19 offset0:8 offset1:60
	ds_write2_b32 v5, v20, v21 offset0:112 offset1:164
	s_waitcnt vmcnt(8)
	ds_write2_b32 v2, v26, v28 offset0:104 offset1:156
	ds_write2_b32 v6, v22, v23 offset0:88 offset1:140
	s_waitcnt vmcnt(6)
	ds_write2_b32 v37, v29, v30 offset0:64 offset1:116
	s_waitcnt vmcnt(4)
	;; [unrolled: 2-line block ×4, first 2 shown]
	ds_write2_b32 v38, v35, v36 offset0:120 offset1:172
	v_mov_b32_e32 v3, v14
	v_mov_b32_e32 v4, v15
	s_and_saveexec_b64 s[6:7], vcc
	s_cbranch_execz .LBB0_14
; %bb.13:
	v_add_co_u32_e32 v1, vcc, 0x1000, v1
	v_addc_co_u32_e32 v2, vcc, 0, v0, vcc
	global_load_dword v0, v[1:2], off offset:896
	v_mov_b32_e32 v3, 51
	v_mov_b32_e32 v4, 0
	;; [unrolled: 1-line block ×3, first 2 shown]
	s_waitcnt vmcnt(0)
	ds_write_b32 v15, v0 offset:4992
.LBB0_14:
	s_or_b64 exec, exec, s[6:7]
.LBB0_15:
	s_or_b64 exec, exec, s[4:5]
	v_lshlrev_b32_e32 v0, 2, v14
	v_add_u32_e32 v48, 0, v0
	s_waitcnt lgkmcnt(0)
	; wave barrier
	s_waitcnt lgkmcnt(0)
	v_sub_u32_e32 v0, 0, v0
	ds_read_u16 v5, v48
	ds_read_u16 v6, v0 offset:4992
	s_add_u32 s6, s12, 0x1378
	v_lshlrev_b64 v[21:22], 2, v[3:4]
	s_addc_u32 s7, s13, 0
	v_cmp_ne_u32_e32 vcc, 0, v14
	s_waitcnt lgkmcnt(0)
	v_add_f16_e32 v1, v6, v5
	v_sub_f16_e32 v2, v5, v6
	s_and_saveexec_b64 s[4:5], vcc
	s_xor_b64 s[4:5], exec, s[4:5]
	s_cbranch_execz .LBB0_17
; %bb.16:
	v_mov_b32_e32 v2, s7
	v_add_co_u32_e32 v1, vcc, s6, v21
	v_addc_co_u32_e32 v2, vcc, v2, v22, vcc
	global_load_dword v3, v[1:2], off
	ds_read_u16 v1, v0 offset:4994
	ds_read_u16 v2, v48 offset:2
	v_add_f16_e32 v4, v6, v5
	v_sub_f16_e32 v5, v5, v6
	s_waitcnt lgkmcnt(0)
	v_add_f16_e32 v6, v1, v2
	v_sub_f16_e32 v1, v2, v1
	s_waitcnt vmcnt(0)
	v_lshrrev_b32_e32 v2, 16, v3
	v_fma_f16 v7, v5, v2, v4
	v_fma_f16 v8, v6, v2, v1
	v_fma_f16 v4, -v5, v2, v4
	v_fma_f16 v9, v6, v2, -v1
	v_fma_f16 v1, -v3, v6, v7
	v_fma_f16 v2, v5, v3, v8
	v_fma_f16 v4, v3, v6, v4
	;; [unrolled: 1-line block ×3, first 2 shown]
	v_pack_b32_f16 v3, v4, v3
	ds_write_b32 v0, v3 offset:4992
.LBB0_17:
	s_andn2_saveexec_b64 s[4:5], s[4:5]
	s_cbranch_execz .LBB0_19
; %bb.18:
	v_mov_b32_e32 v3, 0
	ds_read_b32 v4, v3 offset:2496
	s_mov_b32 s8, 0xc0004000
	s_waitcnt lgkmcnt(0)
	v_pk_mul_f16 v4, v4, s8
	ds_write_b32 v3, v4 offset:2496
.LBB0_19:
	s_or_b64 exec, exec, s[4:5]
	v_mov_b32_e32 v15, 0
	v_lshlrev_b64 v[18:19], 2, v[14:15]
	v_mov_b32_e32 v4, s7
	v_add_co_u32_e32 v3, vcc, s6, v18
	v_addc_co_u32_e32 v4, vcc, v4, v19, vcc
	global_load_dword v5, v[3:4], off offset:208
	global_load_dword v6, v[3:4], off offset:416
	;; [unrolled: 1-line block ×4, first 2 shown]
	s_mov_b32 s4, 0x5040100
	v_perm_b32 v1, v2, v1, s4
	ds_write_b32 v48, v1
	ds_read_b32 v1, v48 offset:208
	ds_read_b32 v2, v0 offset:4784
	global_load_dword v9, v[3:4], off offset:1040
	global_load_dword v10, v[3:4], off offset:1248
	;; [unrolled: 1-line block ×4, first 2 shown]
	v_add_u32_e32 v39, 0x400, v48
	v_add_u32_e32 v58, 52, v14
	;; [unrolled: 1-line block ×3, first 2 shown]
	s_waitcnt lgkmcnt(0)
	v_add_f16_e32 v20, v1, v2
	v_add_f16_sdwa v23, v2, v1 dst_sel:DWORD dst_unused:UNUSED_PAD src0_sel:WORD_1 src1_sel:WORD_1
	v_sub_f16_e32 v24, v1, v2
	v_sub_f16_sdwa v1, v1, v2 dst_sel:DWORD dst_unused:UNUSED_PAD src0_sel:WORD_1 src1_sel:WORD_1
	v_add_u32_e32 v53, 0x9c, v14
	v_add_u32_e32 v51, 0xd0, v14
	;; [unrolled: 1-line block ×8, first 2 shown]
	s_mov_b32 s4, 0xffff
	s_movk_i32 s5, 0x7c
	s_movk_i32 s6, 0x2fc
	v_cmp_gt_u32_e32 vcc, 44, v14
                                        ; implicit-def: $vgpr73
                                        ; implicit-def: $vgpr72
                                        ; implicit-def: $vgpr71
	s_waitcnt vmcnt(7)
	v_lshrrev_b32_e32 v2, 16, v5
	v_fma_f16 v25, v24, v2, v20
	v_fma_f16 v20, -v24, v2, v20
	v_fma_f16 v26, v23, v2, v1
	v_fma_f16 v1, v23, v2, -v1
	v_fma_f16 v2, -v5, v23, v25
	v_fma_f16 v20, v5, v23, v20
	v_fma_f16 v23, v24, v5, v26
	v_fma_f16 v1, v24, v5, v1
	v_pack_b32_f16 v2, v2, v23
	v_pack_b32_f16 v1, v20, v1
	ds_write_b32 v48, v2 offset:208
	ds_write_b32 v0, v1 offset:4784
	ds_read_b32 v1, v48 offset:416
	ds_read_b32 v2, v0 offset:4576
	s_waitcnt vmcnt(6)
	v_lshrrev_b32_e32 v5, 16, v6
	s_waitcnt lgkmcnt(0)
	v_add_f16_e32 v20, v1, v2
	v_add_f16_sdwa v23, v2, v1 dst_sel:DWORD dst_unused:UNUSED_PAD src0_sel:WORD_1 src1_sel:WORD_1
	v_sub_f16_e32 v24, v1, v2
	v_sub_f16_sdwa v1, v1, v2 dst_sel:DWORD dst_unused:UNUSED_PAD src0_sel:WORD_1 src1_sel:WORD_1
	v_fma_f16 v2, v24, v5, v20
	v_fma_f16 v20, -v24, v5, v20
	v_fma_f16 v25, v23, v5, v1
	v_fma_f16 v1, v23, v5, -v1
	v_fma_f16 v2, -v6, v23, v2
	v_fma_f16 v5, v6, v23, v20
	v_fma_f16 v20, v24, v6, v25
	;; [unrolled: 1-line block ×3, first 2 shown]
	v_pack_b32_f16 v2, v2, v20
	v_pack_b32_f16 v1, v5, v1
	ds_write_b32 v48, v2 offset:416
	ds_write_b32 v0, v1 offset:4576
	ds_read_b32 v1, v48 offset:624
	ds_read_b32 v2, v0 offset:4368
	s_waitcnt vmcnt(5)
	v_lshrrev_b32_e32 v5, 16, v7
	s_waitcnt lgkmcnt(0)
	v_add_f16_e32 v6, v1, v2
	v_add_f16_sdwa v20, v2, v1 dst_sel:DWORD dst_unused:UNUSED_PAD src0_sel:WORD_1 src1_sel:WORD_1
	v_sub_f16_e32 v23, v1, v2
	v_sub_f16_sdwa v1, v1, v2 dst_sel:DWORD dst_unused:UNUSED_PAD src0_sel:WORD_1 src1_sel:WORD_1
	v_fma_f16 v2, v23, v5, v6
	v_fma_f16 v24, v20, v5, v1
	v_fma_f16 v6, -v23, v5, v6
	v_fma_f16 v1, v20, v5, -v1
	v_fma_f16 v2, -v7, v20, v2
	v_fma_f16 v5, v23, v7, v24
	v_fma_f16 v6, v7, v20, v6
	;; [unrolled: 1-line block ×3, first 2 shown]
	v_pack_b32_f16 v2, v2, v5
	v_pack_b32_f16 v1, v6, v1
	ds_write_b32 v48, v2 offset:624
	ds_write_b32 v0, v1 offset:4368
	ds_read_b32 v1, v48 offset:832
	ds_read_b32 v2, v0 offset:4160
	s_waitcnt vmcnt(4)
	v_lshrrev_b32_e32 v5, 16, v8
	s_waitcnt lgkmcnt(0)
	v_add_f16_e32 v6, v1, v2
	v_add_f16_sdwa v7, v2, v1 dst_sel:DWORD dst_unused:UNUSED_PAD src0_sel:WORD_1 src1_sel:WORD_1
	v_sub_f16_e32 v20, v1, v2
	v_sub_f16_sdwa v1, v1, v2 dst_sel:DWORD dst_unused:UNUSED_PAD src0_sel:WORD_1 src1_sel:WORD_1
	v_fma_f16 v2, v20, v5, v6
	v_fma_f16 v23, v7, v5, v1
	v_fma_f16 v6, -v20, v5, v6
	v_fma_f16 v1, v7, v5, -v1
	v_fma_f16 v2, -v8, v7, v2
	v_fma_f16 v5, v20, v8, v23
	v_fma_f16 v6, v8, v7, v6
	;; [unrolled: 1-line block ×3, first 2 shown]
	v_pack_b32_f16 v2, v2, v5
	v_pack_b32_f16 v1, v6, v1
	ds_write_b32 v48, v2 offset:832
	ds_write_b32 v0, v1 offset:4160
	ds_read_b32 v1, v48 offset:1040
	ds_read_b32 v2, v0 offset:3952
	s_waitcnt vmcnt(3)
	v_lshrrev_b32_e32 v6, 16, v9
	global_load_dword v5, v[3:4], off offset:1872
	s_waitcnt lgkmcnt(0)
	v_add_f16_e32 v7, v1, v2
	v_add_f16_sdwa v8, v2, v1 dst_sel:DWORD dst_unused:UNUSED_PAD src0_sel:WORD_1 src1_sel:WORD_1
	v_sub_f16_e32 v20, v1, v2
	v_sub_f16_sdwa v1, v1, v2 dst_sel:DWORD dst_unused:UNUSED_PAD src0_sel:WORD_1 src1_sel:WORD_1
	v_fma_f16 v2, v20, v6, v7
	v_fma_f16 v23, v8, v6, v1
	v_fma_f16 v7, -v20, v6, v7
	v_fma_f16 v1, v8, v6, -v1
	v_fma_f16 v2, -v9, v8, v2
	v_fma_f16 v6, v20, v9, v23
	v_fma_f16 v7, v9, v8, v7
	;; [unrolled: 1-line block ×3, first 2 shown]
	v_pack_b32_f16 v2, v2, v6
	v_pack_b32_f16 v1, v7, v1
	ds_write_b32 v48, v2 offset:1040
	ds_write_b32 v0, v1 offset:3952
	ds_read_b32 v1, v48 offset:1248
	ds_read_b32 v2, v0 offset:3744
	s_waitcnt vmcnt(3)
	v_lshrrev_b32_e32 v7, 16, v10
	global_load_dword v6, v[3:4], off offset:2080
	s_waitcnt lgkmcnt(0)
	v_add_f16_e32 v8, v1, v2
	v_add_f16_sdwa v9, v2, v1 dst_sel:DWORD dst_unused:UNUSED_PAD src0_sel:WORD_1 src1_sel:WORD_1
	v_sub_f16_e32 v20, v1, v2
	v_sub_f16_sdwa v1, v1, v2 dst_sel:DWORD dst_unused:UNUSED_PAD src0_sel:WORD_1 src1_sel:WORD_1
	v_fma_f16 v2, v20, v7, v8
	v_fma_f16 v23, v9, v7, v1
	v_fma_f16 v8, -v20, v7, v8
	v_fma_f16 v1, v9, v7, -v1
	v_fma_f16 v2, -v10, v9, v2
	v_fma_f16 v7, v20, v10, v23
	v_fma_f16 v8, v10, v9, v8
	;; [unrolled: 1-line block ×3, first 2 shown]
	v_pack_b32_f16 v2, v2, v7
	v_pack_b32_f16 v1, v8, v1
	ds_write_b32 v48, v2 offset:1248
	ds_write_b32 v0, v1 offset:3744
	ds_read_b32 v1, v48 offset:1456
	ds_read_b32 v2, v0 offset:3536
	s_waitcnt vmcnt(3)
	v_lshrrev_b32_e32 v7, 16, v11
	s_waitcnt lgkmcnt(0)
	v_add_f16_e32 v8, v1, v2
	v_add_f16_sdwa v9, v2, v1 dst_sel:DWORD dst_unused:UNUSED_PAD src0_sel:WORD_1 src1_sel:WORD_1
	v_sub_f16_e32 v10, v1, v2
	v_sub_f16_sdwa v1, v1, v2 dst_sel:DWORD dst_unused:UNUSED_PAD src0_sel:WORD_1 src1_sel:WORD_1
	v_fma_f16 v2, v10, v7, v8
	v_fma_f16 v20, v9, v7, v1
	v_fma_f16 v8, -v10, v7, v8
	v_fma_f16 v1, v9, v7, -v1
	v_fma_f16 v2, -v11, v9, v2
	v_fma_f16 v20, v10, v11, v20
	v_fma_f16 v8, v11, v9, v8
	;; [unrolled: 1-line block ×3, first 2 shown]
	v_pack_b32_f16 v2, v2, v20
	v_pack_b32_f16 v1, v8, v1
	ds_write_b32 v48, v2 offset:1456
	ds_write_b32 v0, v1 offset:3536
	global_load_dword v1, v[3:4], off offset:2288
	ds_read_b32 v2, v48 offset:1664
	ds_read_b32 v3, v0 offset:3328
	v_add_u32_e32 v11, 0xa00, v48
	v_add_u32_e32 v20, 0x1000, v48
	s_waitcnt lgkmcnt(0)
	v_add_f16_e32 v4, v2, v3
	v_add_f16_sdwa v7, v3, v2 dst_sel:DWORD dst_unused:UNUSED_PAD src0_sel:WORD_1 src1_sel:WORD_1
	v_sub_f16_e32 v8, v2, v3
	v_sub_f16_sdwa v2, v2, v3 dst_sel:DWORD dst_unused:UNUSED_PAD src0_sel:WORD_1 src1_sel:WORD_1
	s_waitcnt vmcnt(3)
	v_lshrrev_b32_e32 v3, 16, v15
	v_fma_f16 v9, v8, v3, v4
	v_fma_f16 v10, v7, v3, v2
	v_fma_f16 v4, -v8, v3, v4
	v_fma_f16 v2, v7, v3, -v2
	v_fma_f16 v9, -v15, v7, v9
	v_fma_f16 v10, v8, v15, v10
	v_fma_f16 v4, v15, v7, v4
	;; [unrolled: 1-line block ×3, first 2 shown]
	v_pack_b32_f16 v9, v9, v10
	v_pack_b32_f16 v2, v4, v2
	ds_write_b32 v48, v9 offset:1664
	ds_write_b32 v0, v2 offset:3328
	ds_read_b32 v2, v48 offset:1872
	ds_read_b32 v3, v0 offset:3120
	v_lshl_add_u32 v15, v14, 3, 0
	s_waitcnt lgkmcnt(0)
	v_add_f16_e32 v4, v2, v3
	v_add_f16_sdwa v7, v3, v2 dst_sel:DWORD dst_unused:UNUSED_PAD src0_sel:WORD_1 src1_sel:WORD_1
	v_sub_f16_e32 v8, v2, v3
	v_sub_f16_sdwa v2, v2, v3 dst_sel:DWORD dst_unused:UNUSED_PAD src0_sel:WORD_1 src1_sel:WORD_1
	s_waitcnt vmcnt(2)
	v_lshrrev_b32_e32 v3, 16, v5
	v_fma_f16 v9, v8, v3, v4
	v_fma_f16 v10, v7, v3, v2
	v_fma_f16 v4, -v8, v3, v4
	v_fma_f16 v2, v7, v3, -v2
	v_fma_f16 v9, -v5, v7, v9
	v_fma_f16 v10, v8, v5, v10
	v_fma_f16 v4, v5, v7, v4
	;; [unrolled: 1-line block ×3, first 2 shown]
	v_pack_b32_f16 v9, v9, v10
	v_pack_b32_f16 v2, v4, v2
	ds_write_b32 v48, v9 offset:1872
	ds_write_b32 v0, v2 offset:3120
	ds_read_b32 v2, v48 offset:2080
	ds_read_b32 v3, v0 offset:2912
	s_waitcnt lgkmcnt(0)
	v_add_f16_e32 v4, v2, v3
	v_add_f16_sdwa v5, v3, v2 dst_sel:DWORD dst_unused:UNUSED_PAD src0_sel:WORD_1 src1_sel:WORD_1
	v_sub_f16_e32 v7, v2, v3
	v_sub_f16_sdwa v2, v2, v3 dst_sel:DWORD dst_unused:UNUSED_PAD src0_sel:WORD_1 src1_sel:WORD_1
	s_waitcnt vmcnt(1)
	v_lshrrev_b32_e32 v3, 16, v6
	v_fma_f16 v8, v7, v3, v4
	v_fma_f16 v9, v5, v3, v2
	v_fma_f16 v4, -v7, v3, v4
	v_fma_f16 v2, v5, v3, -v2
	v_fma_f16 v8, -v6, v5, v8
	v_fma_f16 v9, v7, v6, v9
	v_fma_f16 v4, v6, v5, v4
	;; [unrolled: 1-line block ×3, first 2 shown]
	v_pack_b32_f16 v8, v8, v9
	v_pack_b32_f16 v2, v4, v2
	ds_write_b32 v48, v8 offset:2080
	ds_write_b32 v0, v2 offset:2912
	ds_read_b32 v2, v48 offset:2288
	ds_read_b32 v3, v0 offset:2704
	s_waitcnt lgkmcnt(0)
	v_add_f16_e32 v4, v2, v3
	v_add_f16_sdwa v5, v3, v2 dst_sel:DWORD dst_unused:UNUSED_PAD src0_sel:WORD_1 src1_sel:WORD_1
	v_sub_f16_e32 v6, v2, v3
	v_sub_f16_sdwa v2, v2, v3 dst_sel:DWORD dst_unused:UNUSED_PAD src0_sel:WORD_1 src1_sel:WORD_1
	s_waitcnt vmcnt(0)
	v_lshrrev_b32_e32 v3, 16, v1
	v_fma_f16 v7, v6, v3, v4
	v_fma_f16 v8, v5, v3, v2
	v_fma_f16 v4, -v6, v3, v4
	v_fma_f16 v2, v5, v3, -v2
	v_fma_f16 v7, -v1, v5, v7
	v_fma_f16 v8, v6, v1, v8
	v_fma_f16 v4, v1, v5, v4
	;; [unrolled: 1-line block ×3, first 2 shown]
	v_pack_b32_f16 v7, v7, v8
	v_pack_b32_f16 v1, v4, v1
	ds_write_b32 v48, v7 offset:2288
	ds_write_b32 v0, v1 offset:2704
	s_waitcnt lgkmcnt(0)
	; wave barrier
	s_waitcnt lgkmcnt(0)
	s_waitcnt lgkmcnt(0)
	; wave barrier
	s_waitcnt lgkmcnt(0)
	ds_read2_b32 v[3:4], v48 offset1:52
	v_add_u32_e32 v0, 0x800, v48
	ds_read2_b32 v[5:6], v0 offset0:112 offset1:164
	ds_read2_b32 v[7:8], v48 offset0:104 offset1:156
	;; [unrolled: 1-line block ×3, first 2 shown]
	v_add_u32_e32 v2, 0x200, v48
	v_add_u32_e32 v1, 0xc00, v48
	s_waitcnt lgkmcnt(2)
	v_pk_add_f16 v5, v3, v5 neg_lo:[0,1] neg_hi:[0,1]
	v_pk_fma_f16 v3, v3, 2.0, v5 op_sel_hi:[1,0,1] neg_lo:[0,0,1] neg_hi:[0,0,1]
	ds_read2_b32 v[23:24], v2 offset0:80 offset1:132
	ds_read2_b32 v[25:26], v1 offset0:64 offset1:116
	;; [unrolled: 1-line block ×8, first 2 shown]
	s_waitcnt lgkmcnt(0)
	; wave barrier
	s_waitcnt lgkmcnt(0)
	ds_write2_b32 v15, v3, v5 offset1:1
	v_pk_add_f16 v3, v4, v6 neg_lo:[0,1] neg_hi:[0,1]
	v_pk_fma_f16 v4, v4, 2.0, v3 op_sel_hi:[1,0,1] neg_lo:[0,0,1] neg_hi:[0,0,1]
	v_lshl_add_u32 v5, v58, 3, 0
	ds_write2_b32 v5, v4, v3 offset1:1
	v_pk_add_f16 v4, v7, v9 neg_lo:[0,1] neg_hi:[0,1]
	v_lshl_add_u32 v3, v52, 3, 0
	v_pk_fma_f16 v5, v7, 2.0, v4 op_sel_hi:[1,0,1] neg_lo:[0,0,1] neg_hi:[0,0,1]
	ds_write2_b32 v3, v5, v4 offset1:1
	v_pk_add_f16 v3, v8, v10 neg_lo:[0,1] neg_hi:[0,1]
	v_pk_fma_f16 v4, v8, 2.0, v3 op_sel_hi:[1,0,1] neg_lo:[0,0,1] neg_hi:[0,0,1]
	v_lshl_add_u32 v5, v53, 3, 0
	ds_write2_b32 v5, v4, v3 offset1:1
	v_pk_add_f16 v4, v23, v25 neg_lo:[0,1] neg_hi:[0,1]
	v_lshl_add_u32 v3, v51, 3, 0
	v_pk_fma_f16 v5, v23, 2.0, v4 op_sel_hi:[1,0,1] neg_lo:[0,0,1] neg_hi:[0,0,1]
	;; [unrolled: 8-line block ×3, first 2 shown]
	ds_write2_b32 v3, v5, v4 offset1:1
	v_pk_add_f16 v3, v28, v30 neg_lo:[0,1] neg_hi:[0,1]
	v_add_u32_e32 v15, 0x16c, v14
	v_pk_fma_f16 v4, v28, 2.0, v3 op_sel_hi:[1,0,1] neg_lo:[0,0,1] neg_hi:[0,0,1]
	v_lshl_add_u32 v5, v15, 3, 0
	ds_write2_b32 v5, v4, v3 offset1:1
	v_pk_add_f16 v4, v31, v33 neg_lo:[0,1] neg_hi:[0,1]
	v_lshl_add_u32 v3, v56, 3, 0
	v_pk_fma_f16 v5, v31, 2.0, v4 op_sel_hi:[1,0,1] neg_lo:[0,0,1] neg_hi:[0,0,1]
	ds_write2_b32 v3, v5, v4 offset1:1
	v_pk_add_f16 v3, v32, v34 neg_lo:[0,1] neg_hi:[0,1]
	v_pk_fma_f16 v4, v32, 2.0, v3 op_sel_hi:[1,0,1] neg_lo:[0,0,1] neg_hi:[0,0,1]
	v_lshl_add_u32 v5, v57, 3, 0
	ds_write2_b32 v5, v4, v3 offset1:1
	v_pk_add_f16 v4, v35, v37 neg_lo:[0,1] neg_hi:[0,1]
	v_lshl_add_u32 v3, v54, 3, 0
	v_pk_fma_f16 v5, v35, 2.0, v4 op_sel_hi:[1,0,1] neg_lo:[0,0,1] neg_hi:[0,0,1]
	ds_write2_b32 v3, v5, v4 offset1:1
	v_pk_add_f16 v3, v36, v38 neg_lo:[0,1] neg_hi:[0,1]
	v_pk_fma_f16 v4, v36, 2.0, v3 op_sel_hi:[1,0,1] neg_lo:[0,0,1] neg_hi:[0,0,1]
	v_lshl_add_u32 v5, v55, 3, 0
	v_and_b32_e32 v35, 1, v14
	ds_write2_b32 v5, v4, v3 offset1:1
	v_lshlrev_b32_e32 v3, 2, v35
	s_waitcnt lgkmcnt(0)
	; wave barrier
	s_waitcnt lgkmcnt(0)
	global_load_dword v7, v3, s[12:13]
	ds_read2_b32 v[3:4], v20 offset0:120 offset1:172
	ds_read2_b32 v[5:6], v20 offset0:16 offset1:68
	v_lshlrev_b32_e32 v20, 1, v14
	s_waitcnt vmcnt(0) lgkmcnt(1)
	v_pk_mul_f16 v8, v4, v7 op_sel:[0,1]
	v_pk_fma_f16 v28, v4, v7, v8 op_sel:[0,0,1] op_sel_hi:[1,1,0] neg_lo:[0,0,1] neg_hi:[0,0,1]
	v_pk_fma_f16 v29, v4, v7, v8 op_sel:[0,0,1] op_sel_hi:[1,0,0]
	v_pk_mul_f16 v4, v3, v7 op_sel:[0,1]
	v_pk_fma_f16 v30, v3, v7, v4 op_sel:[0,0,1] op_sel_hi:[1,1,0] neg_lo:[0,0,1] neg_hi:[0,0,1]
	v_pk_fma_f16 v31, v3, v7, v4 op_sel:[0,0,1] op_sel_hi:[1,0,0]
	s_waitcnt lgkmcnt(0)
	v_pk_mul_f16 v8, v6, v7 op_sel:[0,1]
	ds_read2_b32 v[3:4], v1 offset0:168 offset1:220
	v_pk_fma_f16 v32, v6, v7, v8 op_sel:[0,0,1] op_sel_hi:[1,1,0] neg_lo:[0,0,1] neg_hi:[0,0,1]
	v_pk_fma_f16 v33, v6, v7, v8 op_sel:[0,0,1] op_sel_hi:[1,0,0]
	v_pk_mul_f16 v6, v5, v7 op_sel:[0,1]
	v_pk_fma_f16 v36, v5, v7, v6 op_sel:[0,0,1] op_sel_hi:[1,1,0] neg_lo:[0,0,1] neg_hi:[0,0,1]
	v_pk_fma_f16 v37, v5, v7, v6 op_sel:[0,0,1] op_sel_hi:[1,0,0]
	ds_read2_b32 v[5:6], v1 offset0:64 offset1:116
	s_waitcnt lgkmcnt(1)
	v_pk_mul_f16 v8, v4, v7 op_sel:[0,1]
	v_pk_fma_f16 v38, v4, v7, v8 op_sel:[0,0,1] op_sel_hi:[1,1,0] neg_lo:[0,0,1] neg_hi:[0,0,1]
	v_pk_fma_f16 v40, v4, v7, v8 op_sel:[0,0,1] op_sel_hi:[1,0,0]
	v_pk_mul_f16 v4, v3, v7 op_sel:[0,1]
	v_pk_fma_f16 v41, v3, v7, v4 op_sel:[0,0,1] op_sel_hi:[1,1,0] neg_lo:[0,0,1] neg_hi:[0,0,1]
	v_pk_fma_f16 v42, v3, v7, v4 op_sel:[0,0,1] op_sel_hi:[1,0,0]
	s_waitcnt lgkmcnt(0)
	v_pk_mul_f16 v8, v6, v7 op_sel:[0,1]
	ds_read2_b32 v[3:4], v11 offset0:88 offset1:140
	v_pk_fma_f16 v34, v6, v7, v8 op_sel:[0,0,1] op_sel_hi:[1,1,0] neg_lo:[0,0,1] neg_hi:[0,0,1]
	v_pk_fma_f16 v11, v6, v7, v8 op_sel:[0,0,1] op_sel_hi:[1,0,0]
	v_pk_mul_f16 v6, v5, v7 op_sel:[0,1]
	v_pk_fma_f16 v43, v5, v7, v6 op_sel:[0,0,1] op_sel_hi:[1,1,0] neg_lo:[0,0,1] neg_hi:[0,0,1]
	v_pk_fma_f16 v44, v5, v7, v6 op_sel:[0,0,1] op_sel_hi:[1,0,0]
	ds_read2_b32 v[5:6], v0 offset0:112 offset1:164
	s_waitcnt lgkmcnt(1)
	v_pk_mul_f16 v8, v7, v4 op_sel:[0,1]
	v_pk_fma_f16 v45, v7, v4, v8 op_sel:[0,0,1] op_sel_hi:[1,1,0] neg_lo:[0,0,1] neg_hi:[0,0,1]
	v_pk_fma_f16 v46, v7, v4, v8 op_sel:[0,0,1] op_sel_hi:[1,0,0]
	v_pk_mul_f16 v4, v7, v3 op_sel:[0,1]
	v_pk_fma_f16 v47, v7, v3, v4 op_sel:[0,0,1] op_sel_hi:[1,1,0] neg_lo:[0,0,1] neg_hi:[0,0,1]
	v_pk_fma_f16 v59, v7, v3, v4 op_sel:[0,0,1] op_sel_hi:[1,0,0]
	s_waitcnt lgkmcnt(0)
	v_pk_mul_f16 v3, v7, v6 op_sel:[0,1]
	v_pk_fma_f16 v23, v7, v6, v3 op_sel:[0,0,1] op_sel_hi:[1,1,0] neg_lo:[0,0,1] neg_hi:[0,0,1]
	v_pk_fma_f16 v60, v7, v6, v3 op_sel:[0,0,1] op_sel_hi:[1,0,0]
	v_pk_mul_f16 v3, v7, v5 op_sel:[0,1]
	v_pk_fma_f16 v4, v7, v5, v3 op_sel:[0,0,1] op_sel_hi:[1,1,0] neg_lo:[0,0,1] neg_hi:[0,0,1]
	v_pk_fma_f16 v3, v7, v5, v3 op_sel:[0,0,1] op_sel_hi:[1,0,0]
	v_bfi_b32 v5, s4, v4, v3
	ds_read2_b32 v[3:4], v48 offset1:52
	v_and_or_b32 v6, v20, s5, v35
	v_lshl_add_u32 v61, v6, 2, 0
	s_movk_i32 s5, 0xfc
	s_waitcnt lgkmcnt(0)
	v_pk_add_f16 v62, v3, v5 neg_lo:[0,1] neg_hi:[0,1]
	v_pk_fma_f16 v3, v3, 2.0, v62 op_sel_hi:[1,0,1] neg_lo:[0,0,1] neg_hi:[0,0,1]
	ds_read2_b32 v[5:6], v48 offset0:104 offset1:156
	ds_read2_b32 v[7:8], v2 offset0:80 offset1:132
	;; [unrolled: 1-line block ×5, first 2 shown]
	s_waitcnt lgkmcnt(0)
	; wave barrier
	s_waitcnt lgkmcnt(0)
	ds_write2_b32 v61, v3, v62 offset1:2
	v_bfi_b32 v3, s4, v23, v60
	v_lshlrev_b32_e32 v23, 1, v58
	v_pk_add_f16 v3, v4, v3 neg_lo:[0,1] neg_hi:[0,1]
	v_and_or_b32 v60, v23, s5, v35
	v_pk_fma_f16 v4, v4, 2.0, v3 op_sel_hi:[1,0,1] neg_lo:[0,0,1] neg_hi:[0,0,1]
	v_lshl_add_u32 v60, v60, 2, 0
	ds_write2_b32 v60, v4, v3 offset1:2
	v_bfi_b32 v3, s4, v47, v59
	s_movk_i32 s5, 0x1fc
	v_lshlrev_b32_e32 v4, 1, v52
	v_and_or_b32 v4, v4, s5, v35
	v_pk_add_f16 v3, v5, v3 neg_lo:[0,1] neg_hi:[0,1]
	v_lshl_add_u32 v4, v4, 2, 0
	v_pk_fma_f16 v5, v5, 2.0, v3 op_sel_hi:[1,0,1] neg_lo:[0,0,1] neg_hi:[0,0,1]
	ds_write2_b32 v4, v5, v3 offset1:2
	v_bfi_b32 v3, s4, v45, v46
	v_lshlrev_b32_e32 v5, 1, v53
	v_pk_add_f16 v3, v6, v3 neg_lo:[0,1] neg_hi:[0,1]
	v_and_or_b32 v5, v5, s5, v35
	v_pk_fma_f16 v4, v6, 2.0, v3 op_sel_hi:[1,0,1] neg_lo:[0,0,1] neg_hi:[0,0,1]
	v_lshl_add_u32 v5, v5, 2, 0
	ds_write2_b32 v5, v4, v3 offset1:2
	v_bfi_b32 v3, s4, v43, v44
	s_movk_i32 s5, 0x3fc
	v_lshlrev_b32_e32 v4, 1, v51
	v_and_or_b32 v4, v4, s5, v35
	v_pk_add_f16 v3, v7, v3 neg_lo:[0,1] neg_hi:[0,1]
	v_lshl_add_u32 v4, v4, 2, 0
	v_pk_fma_f16 v5, v7, 2.0, v3 op_sel_hi:[1,0,1] neg_lo:[0,0,1] neg_hi:[0,0,1]
	ds_write2_b32 v4, v5, v3 offset1:2
	v_bfi_b32 v3, s4, v34, v11
	v_lshlrev_b32_e32 v5, 1, v50
	v_pk_add_f16 v3, v8, v3 neg_lo:[0,1] neg_hi:[0,1]
	v_and_or_b32 v5, v5, s6, v35
	v_pk_fma_f16 v4, v8, 2.0, v3 op_sel_hi:[1,0,1] neg_lo:[0,0,1] neg_hi:[0,0,1]
	v_lshl_add_u32 v5, v5, 2, 0
	ds_write2_b32 v5, v4, v3 offset1:2
	v_bfi_b32 v3, s4, v28, v29
	v_bfi_b32 v4, s4, v30, v31
	v_pk_add_f16 v34, v27, v3 neg_lo:[0,1] neg_hi:[0,1]
	v_pk_add_f16 v30, v26, v4 neg_lo:[0,1] neg_hi:[0,1]
	v_bfi_b32 v3, s4, v36, v37
	v_bfi_b32 v4, s4, v38, v40
	;; [unrolled: 1-line block ×3, first 2 shown]
	v_pk_add_f16 v28, v24, v3 neg_lo:[0,1] neg_hi:[0,1]
	v_pk_add_f16 v32, v10, v4 neg_lo:[0,1] neg_hi:[0,1]
	v_bfi_b32 v3, s4, v41, v42
	v_lshlrev_b32_e32 v4, 1, v49
	v_pk_fma_f16 v33, v24, 2.0, v28 op_sel_hi:[1,0,1] neg_lo:[0,0,1] neg_hi:[0,0,1]
	v_pk_add_f16 v24, v9, v3 neg_lo:[0,1] neg_hi:[0,1]
	v_and_or_b32 v4, v4, s6, v35
	v_pk_fma_f16 v3, v9, 2.0, v24 op_sel_hi:[1,0,1] neg_lo:[0,0,1] neg_hi:[0,0,1]
	v_lshl_add_u32 v4, v4, 2, 0
	ds_write2_b32 v4, v3, v24 offset1:2
	v_lshlrev_b32_e32 v3, 1, v15
	v_pk_fma_f16 v31, v27, 2.0, v34 op_sel_hi:[1,0,1] neg_lo:[0,0,1] neg_hi:[0,0,1]
	v_pk_fma_f16 v27, v26, 2.0, v30 op_sel_hi:[1,0,1] neg_lo:[0,0,1] neg_hi:[0,0,1]
	v_pk_add_f16 v26, v25, v5 neg_lo:[0,1] neg_hi:[0,1]
	v_and_or_b32 v3, v3, s5, v35
	v_lshlrev_b32_e32 v4, 1, v56
	v_pk_fma_f16 v29, v25, 2.0, v26 op_sel_hi:[1,0,1] neg_lo:[0,0,1] neg_hi:[0,0,1]
	v_pk_fma_f16 v25, v10, 2.0, v32 op_sel_hi:[1,0,1] neg_lo:[0,0,1] neg_hi:[0,0,1]
	v_and_or_b32 v4, v4, s5, v35
	s_movk_i32 s4, 0x7fc
	v_lshlrev_b32_e32 v5, 1, v57
	v_lshl_add_u32 v3, v3, 2, 0
	v_and_or_b32 v5, v5, s4, v35
	s_movk_i32 s4, 0x4fc
	v_lshlrev_b32_e32 v6, 1, v54
	ds_write2_b32 v3, v25, v32 offset1:2
	v_lshl_add_u32 v3, v4, 2, 0
	v_and_or_b32 v6, v6, s4, v35
	v_lshlrev_b32_e32 v7, 1, v55
	ds_write2_b32 v3, v33, v28 offset1:2
	v_lshl_add_u32 v3, v5, 2, 0
	v_and_or_b32 v7, v7, s4, v35
	ds_write2_b32 v3, v29, v26 offset1:2
	v_lshl_add_u32 v3, v6, 2, 0
	ds_write2_b32 v3, v27, v30 offset1:2
	v_lshl_add_u32 v3, v7, 2, 0
	ds_write2_b32 v3, v31, v34 offset1:2
	s_waitcnt lgkmcnt(0)
	; wave barrier
	s_waitcnt lgkmcnt(0)
	ds_read2_b32 v[38:39], v39 offset0:128 offset1:224
	v_add_u32_e32 v3, 0xe00, v48
	ds_read_b32 v74, v48 offset:4608
	ds_read2_b32 v[36:37], v48 offset1:96
	ds_read2_b32 v[46:47], v2 offset0:64 offset1:160
	ds_read2_b32 v[44:45], v0 offset0:64 offset1:160
	ds_read2_b32 v[42:43], v1 offset1:96
	ds_read2_b32 v[40:41], v3 offset0:64 offset1:160
	v_lshrrev_b32_e32 v66, 16, v31
	v_lshrrev_b32_e32 v67, 16, v34
	;; [unrolled: 1-line block ×11, first 2 shown]
	s_and_saveexec_b64 s[4:5], vcc
	s_cbranch_execz .LBB0_21
; %bb.20:
	ds_read2_b32 v[24:25], v48 offset0:52 offset1:148
	ds_read2_b32 v[32:33], v2 offset0:116 offset1:212
	v_add_u32_e32 v2, 0x600, v48
	ds_read2_b32 v[28:29], v2 offset0:52 offset1:148
	ds_read2_b32 v[26:27], v0 offset0:116 offset1:212
	;; [unrolled: 1-line block ×4, first 2 shown]
	ds_read_b32 v72, v48 offset:4816
	s_waitcnt lgkmcnt(6)
	v_lshrrev_b32_e32 v59, 16, v24
	v_lshrrev_b32_e32 v70, 16, v25
	s_waitcnt lgkmcnt(5)
	v_lshrrev_b32_e32 v69, 16, v32
	v_lshrrev_b32_e32 v65, 16, v33
	;; [unrolled: 3-line block ×6, first 2 shown]
	s_waitcnt lgkmcnt(0)
	v_lshrrev_b32_e32 v73, 16, v72
.LBB0_21:
	s_or_b64 exec, exec, s[4:5]
	v_and_b32_e32 v60, 3, v14
	v_mul_u32_u24_e32 v0, 12, v60
	v_lshlrev_b32_e32 v75, 2, v0
	global_load_dwordx4 v[4:7], v75, s[12:13] offset:8
	global_load_dwordx4 v[0:3], v75, s[12:13] offset:24
	;; [unrolled: 1-line block ×3, first 2 shown]
	s_waitcnt lgkmcnt(4)
	v_lshrrev_b32_e32 v79, 16, v37
	s_waitcnt lgkmcnt(3)
	v_lshrrev_b32_e32 v80, 16, v46
	v_lshrrev_b32_e32 v81, 16, v47
	;; [unrolled: 1-line block ×4, first 2 shown]
	s_waitcnt lgkmcnt(2)
	v_lshrrev_b32_e32 v84, 16, v44
	v_lshrrev_b32_e32 v85, 16, v45
	s_waitcnt lgkmcnt(1)
	v_lshrrev_b32_e32 v86, 16, v42
	v_lshrrev_b32_e32 v75, 16, v43
	;; [unrolled: 3-line block ×3, first 2 shown]
	v_lshrrev_b32_e32 v77, 16, v41
	s_movk_i32 s6, 0x3b15
	s_movk_i32 s7, 0x388b
	;; [unrolled: 1-line block ×3, first 2 shown]
	s_mov_b32 s9, 0xb5ac
	s_mov_b32 s14, 0xb9fd
	;; [unrolled: 1-line block ×3, first 2 shown]
	s_waitcnt lgkmcnt(0)
	; wave barrier
	s_mov_b32 s18, 0xb770
	s_mov_b32 s16, 0xba95
	;; [unrolled: 1-line block ×6, first 2 shown]
	s_movk_i32 s23, 0x394e
	s_movk_i32 s25, 0x3bf1
	;; [unrolled: 1-line block ×6, first 2 shown]
	s_waitcnt vmcnt(2)
	v_mul_f16_sdwa v88, v4, v37 dst_sel:DWORD dst_unused:UNUSED_PAD src0_sel:WORD_1 src1_sel:DWORD
	v_mul_f16_sdwa v87, v4, v79 dst_sel:DWORD dst_unused:UNUSED_PAD src0_sel:WORD_1 src1_sel:DWORD
	v_mul_f16_sdwa v90, v5, v46 dst_sel:DWORD dst_unused:UNUSED_PAD src0_sel:WORD_1 src1_sel:DWORD
	v_fma_f16 v79, v4, v79, v88
	v_mul_f16_sdwa v89, v5, v80 dst_sel:DWORD dst_unused:UNUSED_PAD src0_sel:WORD_1 src1_sel:DWORD
	v_mul_f16_sdwa v92, v6, v47 dst_sel:DWORD dst_unused:UNUSED_PAD src0_sel:WORD_1 src1_sel:DWORD
	v_fma_f16 v37, v4, v37, -v87
	v_fma_f16 v80, v5, v80, v90
	v_add_f16_sdwa v88, v79, v36 dst_sel:DWORD dst_unused:UNUSED_PAD src0_sel:DWORD src1_sel:WORD_1
	v_mul_f16_sdwa v91, v6, v81 dst_sel:DWORD dst_unused:UNUSED_PAD src0_sel:WORD_1 src1_sel:DWORD
	v_mul_f16_sdwa v94, v7, v38 dst_sel:DWORD dst_unused:UNUSED_PAD src0_sel:WORD_1 src1_sel:DWORD
	v_fma_f16 v46, v5, v46, -v89
	v_fma_f16 v81, v6, v81, v92
	v_add_f16_e32 v87, v37, v36
	v_add_f16_e32 v88, v88, v80
	v_mul_f16_sdwa v93, v7, v82 dst_sel:DWORD dst_unused:UNUSED_PAD src0_sel:WORD_1 src1_sel:DWORD
	s_waitcnt vmcnt(1)
	v_mul_f16_sdwa v96, v0, v39 dst_sel:DWORD dst_unused:UNUSED_PAD src0_sel:WORD_1 src1_sel:DWORD
	v_fma_f16 v47, v6, v47, -v91
	v_fma_f16 v82, v7, v82, v94
	v_add_f16_e32 v87, v87, v46
	v_add_f16_e32 v88, v88, v81
	v_mul_f16_sdwa v95, v0, v83 dst_sel:DWORD dst_unused:UNUSED_PAD src0_sel:WORD_1 src1_sel:DWORD
	v_mul_f16_sdwa v98, v1, v44 dst_sel:DWORD dst_unused:UNUSED_PAD src0_sel:WORD_1 src1_sel:DWORD
	v_fma_f16 v38, v7, v38, -v93
	v_fma_f16 v83, v0, v83, v96
	v_add_f16_e32 v87, v87, v47
	v_add_f16_e32 v88, v88, v82
	v_mul_f16_sdwa v97, v1, v84 dst_sel:DWORD dst_unused:UNUSED_PAD src0_sel:WORD_1 src1_sel:DWORD
	;; [unrolled: 6-line block ×4, first 2 shown]
	s_waitcnt vmcnt(0)
	v_mul_f16_sdwa v104, v43, v8 dst_sel:DWORD dst_unused:UNUSED_PAD src0_sel:DWORD src1_sel:WORD_1
	v_fma_f16 v45, v2, v45, -v99
	v_fma_f16 v86, v3, v86, v102
	v_add_f16_e32 v87, v87, v44
	v_add_f16_e32 v88, v88, v85
	v_mul_f16_sdwa v103, v75, v8 dst_sel:DWORD dst_unused:UNUSED_PAD src0_sel:DWORD src1_sel:WORD_1
	v_mul_f16_sdwa v106, v40, v9 dst_sel:DWORD dst_unused:UNUSED_PAD src0_sel:DWORD src1_sel:WORD_1
	v_fma_f16 v42, v3, v42, -v101
	v_fma_f16 v75, v75, v8, v104
	v_add_f16_e32 v87, v87, v45
	v_add_f16_e32 v88, v88, v86
	v_mul_f16_sdwa v105, v76, v9 dst_sel:DWORD dst_unused:UNUSED_PAD src0_sel:DWORD src1_sel:WORD_1
	v_mul_f16_sdwa v108, v41, v10 dst_sel:DWORD dst_unused:UNUSED_PAD src0_sel:DWORD src1_sel:WORD_1
	;; [unrolled: 1-line block ×4, first 2 shown]
	v_fma_f16 v43, v43, v8, -v103
	v_fma_f16 v76, v76, v9, v106
	v_add_f16_e32 v87, v87, v42
	v_add_f16_e32 v88, v88, v75
	v_mul_f16_sdwa v107, v77, v10 dst_sel:DWORD dst_unused:UNUSED_PAD src0_sel:DWORD src1_sel:WORD_1
	v_fma_f16 v40, v40, v9, -v105
	v_fma_f16 v77, v77, v10, v108
	v_fma_f16 v74, v74, v11, -v109
	v_fma_f16 v78, v78, v11, v110
	v_add_f16_e32 v87, v87, v43
	v_add_f16_e32 v88, v88, v76
	v_fma_f16 v41, v41, v10, -v107
	v_add_f16_e32 v89, v37, v74
	v_add_f16_e32 v90, v79, v78
	v_sub_f16_e32 v37, v37, v74
	v_sub_f16_e32 v79, v79, v78
	v_add_f16_e32 v87, v87, v40
	v_add_f16_e32 v88, v88, v77
	v_mul_f16_e32 v91, 0xb770, v79
	v_add_f16_e32 v87, v87, v41
	v_add_f16_e32 v78, v88, v78
	v_mul_f16_e32 v88, 0xb770, v37
	v_mul_f16_e32 v93, 0xba95, v79
	;; [unrolled: 1-line block ×11, first 2 shown]
	v_add_f16_e32 v74, v87, v74
	v_fma_f16 v87, v89, s6, -v91
	v_fma_f16 v92, v90, s6, v88
	v_fma_f16 v91, v89, s6, v91
	v_fma_f16 v88, v90, s6, -v88
	v_fma_f16 v94, v89, s7, -v93
	v_fma_f16 v96, v90, s7, v95
	v_fma_f16 v93, v89, s7, v93
	v_fma_f16 v95, v90, s7, -v95
	;; [unrolled: 4-line block ×6, first 2 shown]
	v_add_f16_e32 v87, v87, v36
	v_add_f16_sdwa v92, v92, v36 dst_sel:DWORD dst_unused:UNUSED_PAD src0_sel:DWORD src1_sel:WORD_1
	v_add_f16_e32 v91, v91, v36
	v_add_f16_sdwa v88, v88, v36 dst_sel:DWORD dst_unused:UNUSED_PAD src0_sel:DWORD src1_sel:WORD_1
	;; [unrolled: 2-line block ×12, first 2 shown]
	v_add_f16_e32 v37, v46, v41
	v_sub_f16_e32 v41, v46, v41
	v_sub_f16_e32 v46, v80, v77
	v_add_f16_e32 v89, v80, v77
	v_mul_f16_e32 v77, 0xba95, v46
	v_fma_f16 v80, v37, s7, -v77
	v_add_f16_e32 v80, v80, v87
	v_mul_f16_e32 v87, 0xba95, v41
	v_fma_f16 v90, v89, s7, v87
	v_fma_f16 v87, v89, s7, -v87
	v_fma_f16 v77, v37, s7, v77
	v_add_f16_e32 v87, v87, v88
	v_mul_f16_e32 v88, 0xbb7b, v46
	v_add_f16_e32 v90, v90, v92
	v_add_f16_e32 v77, v77, v91
	v_fma_f16 v91, v37, s9, -v88
	v_mul_f16_e32 v92, 0xbb7b, v41
	v_fma_f16 v88, v37, s9, v88
	v_add_f16_e32 v91, v91, v94
	v_fma_f16 v94, v89, s9, v92
	v_add_f16_e32 v88, v88, v93
	v_fma_f16 v92, v89, s9, -v92
	v_mul_f16_e32 v93, 0xb3a8, v46
	v_add_f16_e32 v94, v94, v96
	v_add_f16_e32 v92, v92, v95
	v_fma_f16 v95, v37, s15, -v93
	v_mul_f16_e32 v96, 0xb3a8, v41
	v_fma_f16 v93, v37, s15, v93
	v_add_f16_e32 v95, v95, v98
	v_fma_f16 v98, v89, s15, v96
	v_add_f16_e32 v93, v93, v97
	v_fma_f16 v96, v89, s15, -v96
	;; [unrolled: 10-line block ×3, first 2 shown]
	v_mul_f16_e32 v101, 0x3bf1, v46
	v_add_f16_e32 v102, v102, v104
	v_add_f16_e32 v100, v100, v103
	v_fma_f16 v103, v37, s8, -v101
	v_mul_f16_e32 v104, 0x3bf1, v41
	v_add_f16_e32 v103, v103, v106
	v_fma_f16 v106, v89, s8, v104
	v_fma_f16 v104, v89, s8, -v104
	v_mul_f16_e32 v41, 0x3770, v41
	v_add_f16_e32 v104, v104, v107
	v_fma_f16 v107, v89, s6, v41
	v_fma_f16 v41, v89, s6, -v41
	v_fma_f16 v101, v37, s8, v101
	v_mul_f16_e32 v46, 0x3770, v46
	v_add_f16_e32 v36, v41, v36
	v_add_f16_e32 v41, v47, v40
	v_sub_f16_e32 v40, v47, v40
	v_sub_f16_e32 v47, v81, v76
	v_add_f16_e32 v101, v101, v105
	v_fma_f16 v105, v37, s6, -v46
	v_fma_f16 v37, v37, s6, v46
	v_add_f16_e32 v46, v81, v76
	v_mul_f16_e32 v76, 0xbbf1, v47
	v_add_f16_e32 v37, v37, v79
	v_fma_f16 v79, v41, s8, -v76
	v_add_f16_e32 v79, v79, v80
	v_mul_f16_e32 v80, 0xbbf1, v40
	v_fma_f16 v76, v41, s8, v76
	v_fma_f16 v81, v46, s8, v80
	v_add_f16_e32 v76, v76, v77
	v_fma_f16 v77, v46, s8, -v80
	v_mul_f16_e32 v80, 0xb3a8, v47
	v_add_f16_e32 v77, v77, v87
	v_fma_f16 v87, v41, s15, -v80
	v_mul_f16_e32 v89, 0xb3a8, v40
	v_fma_f16 v80, v41, s15, v80
	v_add_f16_e32 v81, v81, v90
	v_fma_f16 v90, v46, s15, v89
	v_add_f16_e32 v80, v80, v88
	v_fma_f16 v88, v46, s15, -v89
	v_mul_f16_e32 v89, 0x3b7b, v47
	v_add_f16_e32 v87, v87, v91
	v_add_f16_e32 v88, v88, v92
	v_fma_f16 v91, v41, s9, -v89
	v_mul_f16_e32 v92, 0x3b7b, v40
	v_fma_f16 v89, v41, s9, v89
	v_add_f16_e32 v90, v90, v94
	v_fma_f16 v94, v46, s9, v92
	v_add_f16_e32 v89, v89, v93
	v_fma_f16 v92, v46, s9, -v92
	v_mul_f16_e32 v93, 0x3770, v47
	v_add_f16_e32 v91, v91, v95
	;; [unrolled: 10-line block ×3, first 2 shown]
	v_add_f16_e32 v96, v96, v100
	v_fma_f16 v99, v41, s7, -v97
	v_mul_f16_e32 v100, 0xba95, v40
	v_mul_f16_e32 v40, 0xb94e, v40
	v_add_f16_e32 v99, v99, v103
	v_fma_f16 v103, v46, s14, v40
	v_fma_f16 v40, v46, s14, -v40
	v_fma_f16 v97, v41, s7, v97
	v_mul_f16_e32 v47, 0xb94e, v47
	v_add_f16_e32 v36, v40, v36
	v_add_f16_e32 v40, v38, v43
	v_sub_f16_e32 v38, v38, v43
	v_sub_f16_e32 v43, v82, v75
	v_add_f16_e32 v98, v98, v102
	v_fma_f16 v102, v46, s7, v100
	v_add_f16_e32 v97, v97, v101
	v_fma_f16 v100, v46, s7, -v100
	v_fma_f16 v101, v41, s14, -v47
	v_fma_f16 v41, v41, s14, v47
	v_mul_f16_e32 v46, 0xbb7b, v43
	v_add_f16_e32 v37, v41, v37
	v_add_f16_e32 v41, v82, v75
	v_fma_f16 v47, v40, s9, -v46
	v_mul_f16_e32 v75, 0xbb7b, v38
	v_fma_f16 v46, v40, s9, v46
	v_add_f16_e32 v47, v47, v79
	v_fma_f16 v79, v41, s9, v75
	v_add_f16_e32 v46, v46, v76
	v_fma_f16 v75, v41, s9, -v75
	v_mul_f16_e32 v76, 0x394e, v43
	v_add_f16_e32 v79, v79, v81
	v_add_f16_e32 v75, v75, v77
	v_fma_f16 v77, v40, s14, -v76
	v_mul_f16_e32 v81, 0x394e, v38
	v_fma_f16 v76, v40, s14, v76
	v_fma_f16 v82, v41, s14, v81
	v_add_f16_e32 v76, v76, v80
	v_fma_f16 v80, v41, s14, -v81
	v_mul_f16_e32 v81, 0x3770, v43
	v_add_f16_e32 v77, v77, v87
	v_add_f16_e32 v80, v80, v88
	v_fma_f16 v87, v40, s6, -v81
	v_mul_f16_e32 v88, 0x3770, v38
	v_fma_f16 v81, v40, s6, v81
	v_add_f16_e32 v82, v82, v90
	v_fma_f16 v90, v41, s6, v88
	v_add_f16_e32 v81, v81, v89
	v_fma_f16 v88, v41, s6, -v88
	v_mul_f16_e32 v89, 0xbbf1, v43
	v_add_f16_e32 v87, v87, v91
	v_add_f16_e32 v88, v88, v92
	v_fma_f16 v91, v40, s8, -v89
	v_mul_f16_e32 v92, 0xbbf1, v38
	v_fma_f16 v89, v40, s8, v89
	v_add_f16_e32 v90, v90, v94
	v_fma_f16 v94, v41, s8, v92
	v_add_f16_e32 v89, v89, v93
	v_fma_f16 v92, v41, s8, -v92
	v_mul_f16_e32 v93, 0x33a8, v43
	v_add_f16_e32 v91, v91, v95
	v_add_f16_e32 v92, v92, v96
	v_fma_f16 v95, v40, s15, -v93
	v_mul_f16_e32 v96, 0x33a8, v38
	v_mul_f16_e32 v38, 0x3a95, v38
	v_add_f16_e32 v94, v94, v98
	v_add_f16_e32 v95, v95, v99
	v_fma_f16 v98, v41, s15, v96
	v_fma_f16 v96, v41, s15, -v96
	v_fma_f16 v99, v41, s7, v38
	v_fma_f16 v38, v41, s7, -v38
	v_sub_f16_e32 v41, v83, v86
	v_fma_f16 v93, v40, s15, v93
	v_mul_f16_e32 v43, 0x3a95, v43
	v_add_f16_e32 v36, v38, v36
	v_add_f16_e32 v38, v39, v42
	v_sub_f16_e32 v39, v39, v42
	v_mul_f16_e32 v42, 0xb94e, v41
	v_add_f16_e32 v93, v93, v97
	v_fma_f16 v97, v40, s7, -v43
	v_fma_f16 v40, v40, s7, v43
	v_fma_f16 v43, v38, s14, -v42
	v_add_f16_e32 v37, v40, v37
	v_add_f16_e32 v40, v83, v86
	;; [unrolled: 1-line block ×3, first 2 shown]
	v_mul_f16_e32 v47, 0xb94e, v39
	v_fma_f16 v42, v38, s14, v42
	v_fma_f16 v83, v40, s14, v47
	v_add_f16_e32 v42, v42, v46
	v_fma_f16 v46, v40, s14, -v47
	v_mul_f16_e32 v47, 0x3bf1, v41
	v_add_f16_e32 v46, v46, v75
	v_fma_f16 v75, v38, s8, -v47
	v_add_f16_e32 v75, v75, v77
	v_mul_f16_e32 v77, 0x3bf1, v39
	v_fma_f16 v47, v38, s8, v47
	v_add_f16_e32 v79, v83, v79
	v_fma_f16 v83, v40, s8, v77
	v_add_f16_e32 v47, v47, v76
	v_fma_f16 v76, v40, s8, -v77
	v_mul_f16_e32 v77, 0xba95, v41
	v_add_f16_e32 v82, v83, v82
	v_add_f16_e32 v76, v76, v80
	v_fma_f16 v80, v38, s7, -v77
	v_mul_f16_e32 v83, 0xba95, v39
	v_fma_f16 v77, v38, s7, v77
	v_fma_f16 v86, v40, s7, v83
	v_add_f16_e32 v77, v77, v81
	v_fma_f16 v81, v40, s7, -v83
	v_mul_f16_e32 v83, 0x33a8, v41
	v_add_f16_e32 v80, v80, v87
	v_fma_f16 v87, v38, s15, -v83
	v_fma_f16 v83, v38, s15, v83
	v_add_f16_e32 v81, v81, v88
	v_mul_f16_e32 v88, 0x33a8, v39
	v_add_f16_e32 v83, v83, v89
	v_mul_f16_e32 v89, 0x3770, v41
	v_add_f16_e32 v86, v86, v90
	v_add_f16_e32 v87, v87, v91
	v_fma_f16 v90, v40, s15, v88
	v_fma_f16 v88, v40, s15, -v88
	v_fma_f16 v91, v38, s6, -v89
	v_fma_f16 v89, v38, s6, v89
	v_mul_f16_e32 v41, 0xbb7b, v41
	v_add_f16_e32 v88, v88, v92
	v_mul_f16_e32 v92, 0x3770, v39
	v_add_f16_e32 v89, v89, v93
	v_fma_f16 v93, v38, s9, -v41
	v_mul_f16_e32 v39, 0xbb7b, v39
	v_fma_f16 v38, v38, s9, v41
	v_add_f16_e32 v37, v38, v37
	v_fma_f16 v38, v40, s9, -v39
	v_sub_f16_e32 v41, v84, v85
	v_add_f16_e32 v90, v90, v94
	v_add_f16_e32 v91, v91, v95
	v_fma_f16 v94, v40, s6, v92
	v_fma_f16 v92, v40, s6, -v92
	v_fma_f16 v95, v40, s9, v39
	v_add_f16_e32 v36, v38, v36
	v_add_f16_e32 v38, v44, v45
	v_sub_f16_e32 v40, v44, v45
	v_mul_f16_e32 v44, 0xb3a8, v41
	v_fma_f16 v45, v38, s15, -v44
	v_add_f16_e32 v39, v84, v85
	v_add_f16_e32 v43, v45, v43
	v_mul_f16_e32 v45, 0xb3a8, v40
	v_fma_f16 v44, v38, s15, v44
	v_fma_f16 v84, v39, s15, v45
	v_add_f16_e32 v42, v44, v42
	v_fma_f16 v44, v39, s15, -v45
	v_mul_f16_e32 v45, 0x3770, v41
	v_add_f16_e32 v44, v44, v46
	v_fma_f16 v46, v38, s6, -v45
	v_add_f16_e32 v46, v46, v75
	v_mul_f16_e32 v75, 0x3770, v40
	v_fma_f16 v45, v38, s6, v45
	v_add_f16_e32 v79, v84, v79
	v_fma_f16 v84, v39, s6, v75
	v_add_f16_e32 v45, v45, v47
	v_fma_f16 v47, v39, s6, -v75
	v_mul_f16_e32 v75, 0xb94e, v41
	v_add_f16_e32 v47, v47, v76
	v_fma_f16 v76, v38, s14, -v75
	v_add_f16_e32 v76, v76, v80
	v_mul_f16_e32 v80, 0xb94e, v40
	v_fma_f16 v75, v38, s14, v75
	v_add_f16_e32 v82, v84, v82
	v_fma_f16 v84, v39, s14, v80
	v_add_f16_e32 v75, v75, v77
	v_fma_f16 v77, v39, s14, -v80
	v_mul_f16_e32 v80, 0x3a95, v41
	v_add_f16_e32 v77, v77, v81
	v_fma_f16 v81, v38, s7, -v80
	v_mul_f16_e32 v85, 0x3a95, v40
	v_fma_f16 v80, v38, s7, v80
	v_add_f16_e32 v84, v84, v86
	v_fma_f16 v86, v39, s7, v85
	v_add_f16_e32 v80, v80, v83
	v_fma_f16 v83, v39, s7, -v85
	v_mul_f16_e32 v85, 0xbb7b, v41
	v_add_f16_e32 v81, v81, v87
	v_fma_f16 v87, v38, s9, -v85
	v_fma_f16 v85, v38, s9, v85
	v_mul_f16_e32 v41, 0x3bf1, v41
	v_add_f16_e32 v83, v83, v88
	v_mul_f16_e32 v88, 0xbb7b, v40
	v_add_f16_e32 v85, v85, v89
	v_fma_f16 v89, v38, s8, -v41
	v_mul_f16_e32 v40, 0x3bf1, v40
	v_fma_f16 v38, v38, s8, v41
	v_add_f16_e32 v37, v38, v37
	v_fma_f16 v38, v39, s8, -v40
	v_add_f16_e32 v106, v106, v108
	v_add_f16_e32 v36, v38, v36
	v_lshrrev_b32_e32 v38, 2, v14
	v_add_f16_e32 v105, v105, v109
	v_add_f16_e32 v107, v107, v110
	;; [unrolled: 1-line block ×3, first 2 shown]
	v_mul_u32_u24_e32 v38, 52, v38
	v_add_f16_e32 v101, v101, v105
	v_add_f16_e32 v103, v103, v107
	;; [unrolled: 1-line block ×3, first 2 shown]
	v_or_b32_e32 v38, v38, v60
	v_add_f16_e32 v100, v100, v104
	v_add_f16_e32 v97, v97, v101
	;; [unrolled: 1-line block ×6, first 2 shown]
	v_fma_f16 v90, v39, s9, v88
	v_fma_f16 v88, v39, s9, -v88
	v_fma_f16 v91, v39, s8, v40
	v_lshl_add_u32 v38, v38, 2, 0
	v_pack_b32_f16 v39, v74, v78
	v_pack_b32_f16 v40, v43, v79
	v_add_f16_e32 v96, v96, v100
	v_add_f16_e32 v93, v93, v97
	;; [unrolled: 1-line block ×4, first 2 shown]
	ds_write2_b32 v38, v39, v40 offset1:4
	v_pack_b32_f16 v39, v46, v82
	v_pack_b32_f16 v40, v76, v84
	v_add_f16_e32 v92, v92, v96
	v_add_f16_e32 v89, v89, v93
	v_add_f16_e32 v91, v91, v95
	ds_write2_b32 v38, v39, v40 offset0:8 offset1:12
	v_pack_b32_f16 v39, v81, v86
	v_pack_b32_f16 v40, v87, v90
	v_add_f16_e32 v88, v88, v92
	ds_write2_b32 v38, v39, v40 offset0:16 offset1:20
	v_pack_b32_f16 v39, v89, v91
	v_pack_b32_f16 v36, v37, v36
	ds_write2_b32 v38, v39, v36 offset0:24 offset1:28
	v_pack_b32_f16 v36, v85, v88
	v_pack_b32_f16 v37, v80, v83
	;; [unrolled: 3-line block ×3, first 2 shown]
	ds_write2_b32 v38, v36, v37 offset0:40 offset1:44
	v_pack_b32_f16 v36, v42, v44
	ds_write_b32 v38, v36 offset:192
	s_and_saveexec_b64 s[4:5], vcc
	s_cbranch_execz .LBB0_23
; %bb.22:
	v_mul_f16_sdwa v36, v72, v11 dst_sel:DWORD dst_unused:UNUSED_PAD src0_sel:DWORD src1_sel:WORD_1
	v_mul_f16_sdwa v37, v25, v4 dst_sel:DWORD dst_unused:UNUSED_PAD src0_sel:DWORD src1_sel:WORD_1
	;; [unrolled: 1-line block ×3, first 2 shown]
	v_fma_f16 v36, v73, v11, v36
	v_fma_f16 v37, v70, v4, v37
	v_fma_f16 v4, v25, v4, -v40
	v_mul_f16_sdwa v25, v73, v11 dst_sel:DWORD dst_unused:UNUSED_PAD src0_sel:DWORD src1_sel:WORD_1
	v_mul_f16_sdwa v41, v35, v10 dst_sel:DWORD dst_unused:UNUSED_PAD src0_sel:DWORD src1_sel:WORD_1
	;; [unrolled: 1-line block ×4, first 2 shown]
	v_add_f16_e32 v38, v37, v36
	v_fma_f16 v11, v72, v11, -v25
	v_fma_f16 v41, v71, v10, v41
	v_fma_f16 v42, v69, v5, v42
	v_fma_f16 v5, v32, v5, -v45
	v_mul_f16_sdwa v32, v71, v10 dst_sel:DWORD dst_unused:UNUSED_PAD src0_sel:DWORD src1_sel:WORD_1
	v_mul_f16_e32 v39, 0x2fb7, v38
	v_sub_f16_e32 v25, v4, v11
	v_add_f16_e32 v43, v42, v41
	v_fma_f16 v10, v35, v10, -v32
	v_fma_f16 v40, v25, s25, v39
	v_mul_f16_e32 v44, 0xbbc4, v43
	v_sub_f16_e32 v32, v5, v10
	v_add_f16_e32 v40, v59, v40
	v_fma_f16 v35, v32, s26, v44
	v_mul_f16_sdwa v45, v33, v6 dst_sel:DWORD dst_unused:UNUSED_PAD src0_sel:DWORD src1_sel:WORD_1
	v_add_f16_e32 v35, v35, v40
	v_mul_f16_sdwa v40, v34, v9 dst_sel:DWORD dst_unused:UNUSED_PAD src0_sel:DWORD src1_sel:WORD_1
	v_fma_f16 v45, v65, v6, v45
	v_mul_f16_sdwa v65, v65, v6 dst_sel:DWORD dst_unused:UNUSED_PAD src0_sel:DWORD src1_sel:WORD_1
	v_fma_f16 v40, v67, v9, v40
	v_fma_f16 v6, v33, v6, -v65
	v_mul_f16_sdwa v33, v67, v9 dst_sel:DWORD dst_unused:UNUSED_PAD src0_sel:DWORD src1_sel:WORD_1
	v_add_f16_e32 v46, v45, v40
	v_fma_f16 v9, v34, v9, -v33
	v_mul_f16_e32 v47, 0xb5ac, v46
	v_sub_f16_e32 v33, v6, v9
	v_fma_f16 v34, v33, s21, v47
	v_mul_f16_sdwa v65, v28, v7 dst_sel:DWORD dst_unused:UNUSED_PAD src0_sel:DWORD src1_sel:WORD_1
	v_add_f16_e32 v34, v34, v35
	v_mul_f16_sdwa v35, v31, v8 dst_sel:DWORD dst_unused:UNUSED_PAD src0_sel:DWORD src1_sel:WORD_1
	v_fma_f16 v65, v68, v7, v65
	v_mul_f16_sdwa v68, v68, v7 dst_sel:DWORD dst_unused:UNUSED_PAD src0_sel:DWORD src1_sel:WORD_1
	v_fma_f16 v35, v66, v8, v35
	v_fma_f16 v7, v28, v7, -v68
	v_mul_f16_sdwa v28, v66, v8 dst_sel:DWORD dst_unused:UNUSED_PAD src0_sel:DWORD src1_sel:WORD_1
	v_add_f16_e32 v67, v65, v35
	v_fma_f16 v8, v31, v8, -v28
	v_mul_f16_e32 v69, 0x3b15, v67
	v_sub_f16_e32 v28, v7, v8
	;; [unrolled: 13-line block ×4, first 2 shown]
	v_fma_f16 v27, v26, s23, v71
	v_sub_f16_e32 v61, v37, v36
	v_add_f16_e32 v27, v27, v30
	v_add_f16_e32 v30, v4, v11
	v_mul_f16_e32 v62, 0xbbf1, v61
	v_sub_f16_e32 v74, v42, v41
	v_fma_f16 v72, v30, s8, v62
	v_add_f16_e32 v73, v5, v10
	v_mul_f16_e32 v75, 0xb3a8, v74
	v_add_f16_e32 v72, v24, v72
	v_fma_f16 v76, v73, s15, v75
	v_sub_f16_e32 v77, v45, v40
	v_add_f16_e32 v72, v76, v72
	v_add_f16_e32 v76, v6, v9
	v_mul_f16_e32 v78, 0x3b7b, v77
	v_fma_f16 v79, v76, s9, v78
	v_sub_f16_e32 v80, v65, v35
	v_add_f16_e32 v72, v79, v72
	v_add_f16_e32 v79, v7, v8
	v_mul_f16_e32 v81, 0x3770, v80
	;; [unrolled: 5-line block ×4, first 2 shown]
	v_fma_f16 v88, v85, s14, v87
	v_add_f16_e32 v72, v88, v72
	v_mul_f16_e32 v88, 0xb5ac, v38
	v_fma_f16 v89, v25, s24, v88
	v_mul_f16_e32 v90, 0xb9fd, v43
	v_add_f16_e32 v89, v59, v89
	v_fma_f16 v91, v32, s19, v90
	v_add_f16_e32 v89, v91, v89
	v_mul_f16_e32 v91, 0x3b15, v46
	v_fma_f16 v92, v33, s18, v91
	v_add_f16_e32 v89, v92, v89
	v_mul_f16_e32 v92, 0x2fb7, v67
	;; [unrolled: 3-line block ×5, first 2 shown]
	v_fma_f16 v96, v30, s9, v95
	v_mul_f16_e32 v97, 0x394e, v74
	v_add_f16_e32 v96, v24, v96
	v_fma_f16 v98, v73, s14, v97
	v_add_f16_e32 v96, v98, v96
	v_mul_f16_e32 v98, 0x3770, v77
	v_fma_f16 v99, v76, s6, v98
	v_add_f16_e32 v96, v99, v96
	v_mul_f16_e32 v99, 0xbbf1, v80
	;; [unrolled: 3-line block ×4, first 2 shown]
	v_fma_f16 v39, v25, s17, v39
	v_fma_f16 v102, v85, s7, v101
	v_add_f16_e32 v39, v59, v39
	v_fma_f16 v44, v32, s20, v44
	v_add_f16_e32 v96, v102, v96
	v_mul_f16_e32 v102, 0xb9fd, v38
	v_add_f16_e32 v39, v44, v39
	v_fma_f16 v44, v33, s24, v47
	v_fma_f16 v103, v25, s23, v102
	v_mul_f16_e32 v104, 0x2fb7, v43
	v_add_f16_e32 v39, v44, v39
	v_fma_f16 v44, v28, s22, v69
	v_add_f16_e32 v103, v59, v103
	v_fma_f16 v105, v32, s17, v104
	;; [unrolled: 2-line block ×3, first 2 shown]
	v_add_f16_e32 v103, v105, v103
	v_mul_f16_e32 v105, 0x388b, v46
	v_add_f16_e32 v39, v44, v39
	v_fma_f16 v44, v26, s19, v71
	v_fma_f16 v106, v33, s27, v105
	v_add_f16_e32 v39, v44, v39
	v_fma_f16 v44, v30, s8, -v62
	v_add_f16_e32 v103, v106, v103
	v_mul_f16_e32 v106, 0xbbc4, v67
	v_add_f16_e32 v44, v24, v44
	v_fma_f16 v47, v73, s15, -v75
	v_fma_f16 v107, v28, s20, v106
	v_add_f16_e32 v44, v47, v44
	v_fma_f16 v47, v76, s9, -v78
	v_add_f16_e32 v103, v107, v103
	v_mul_f16_e32 v107, 0x3b15, v68
	v_add_f16_e32 v44, v47, v44
	v_fma_f16 v47, v79, s6, -v81
	;; [unrolled: 7-line block ×3, first 2 shown]
	v_fma_f16 v109, v26, s24, v108
	v_add_f16_e32 v44, v47, v44
	v_mul_f16_e32 v47, 0xba95, v25
	v_add_f16_e32 v103, v109, v103
	v_mul_f16_e32 v109, 0xb94e, v61
	v_fma_f16 v88, v25, s21, v88
	v_fma_f16 v62, v38, s7, v47
	v_mul_f16_e32 v69, 0xbb7b, v32
	v_fma_f16 v110, v30, s14, v109
	v_mul_f16_e32 v111, 0x3bf1, v74
	v_add_f16_e32 v88, v59, v88
	v_fma_f16 v90, v32, s23, v90
	v_add_f16_e32 v62, v59, v62
	v_fma_f16 v70, v43, s9, v69
	;; [unrolled: 2-line block ×4, first 2 shown]
	v_add_f16_e32 v62, v70, v62
	v_mul_f16_e32 v70, 0xb3a8, v33
	v_add_f16_e32 v110, v112, v110
	v_mul_f16_e32 v112, 0xba95, v77
	v_add_f16_e32 v88, v90, v88
	v_fma_f16 v90, v28, s17, v92
	v_fma_f16 v71, v46, s15, v70
	v_add_f16_e32 v4, v24, v4
	v_fma_f16 v113, v76, s7, v112
	v_add_f16_e32 v88, v90, v88
	;; [unrolled: 2-line block ×3, first 2 shown]
	v_mul_f16_e32 v71, 0x394e, v28
	v_add_f16_e32 v4, v4, v5
	v_add_f16_e32 v110, v113, v110
	v_mul_f16_e32 v113, 0x33a8, v80
	v_add_f16_e32 v88, v90, v88
	v_fma_f16 v90, v26, s27, v94
	v_fma_f16 v75, v67, s14, v71
	v_add_f16_e32 v4, v4, v6
	v_fma_f16 v114, v79, s15, v113
	v_add_f16_e32 v88, v90, v88
	v_fma_f16 v90, v30, s9, -v95
	v_add_f16_e32 v62, v75, v62
	v_mul_f16_e32 v75, 0x3bf1, v29
	v_add_f16_e32 v4, v4, v7
	v_add_f16_e32 v110, v114, v110
	v_mul_f16_e32 v114, 0x3770, v83
	v_add_f16_e32 v90, v24, v90
	v_fma_f16 v91, v73, s14, -v97
	v_fma_f16 v78, v68, s8, v75
	v_add_f16_e32 v0, v4, v0
	v_fma_f16 v115, v82, s6, v114
	v_add_f16_e32 v90, v91, v90
	v_fma_f16 v91, v76, s6, -v98
	v_add_f16_e32 v62, v78, v62
	v_mul_f16_e32 v78, 0x3770, v26
	v_add_f16_e32 v0, v0, v1
	v_add_f16_e32 v110, v115, v110
	v_mul_f16_e32 v115, 0xbb7b, v86
	v_add_f16_e32 v90, v91, v90
	v_fma_f16 v91, v79, s8, -v99
	v_fma_f16 v81, v64, s6, v78
	v_add_f16_e32 v0, v0, v2
	v_fma_f16 v2, v38, s7, -v47
	v_fma_f16 v116, v85, s9, v115
	v_add_f16_e32 v90, v91, v90
	v_fma_f16 v91, v82, s15, -v100
	v_add_f16_e32 v62, v81, v62
	v_mul_f16_e32 v81, 0xba95, v61
	v_add_f16_e32 v0, v0, v3
	v_add_f16_e32 v2, v59, v2
	v_fma_f16 v3, v43, s9, -v69
	v_add_f16_e32 v110, v116, v110
	v_mul_f16_e32 v116, 0xbbc4, v38
	v_add_f16_e32 v90, v91, v90
	v_fma_f16 v91, v85, s7, -v101
	v_fma_f16 v84, v30, s7, -v81
	v_mul_f16_e32 v87, 0xbb7b, v74
	v_add_f16_e32 v2, v3, v2
	v_fma_f16 v3, v46, s15, -v70
	v_fma_f16 v117, v25, s26, v116
	v_mul_f16_e32 v118, 0x3b15, v43
	v_add_f16_e32 v90, v91, v90
	v_add_f16_e32 v84, v24, v84
	v_fma_f16 v91, v73, s9, -v87
	v_add_f16_e32 v2, v3, v2
	v_fma_f16 v3, v67, s14, -v71
	v_add_f16_e32 v117, v59, v117
	v_fma_f16 v119, v32, s18, v118
	v_add_f16_e32 v84, v91, v84
	v_mul_f16_e32 v91, 0xb3a8, v77
	v_add_f16_e32 v2, v3, v2
	v_fma_f16 v3, v68, s8, -v75
	v_add_f16_e32 v117, v119, v117
	v_mul_f16_e32 v119, 0xb9fd, v46
	v_fma_f16 v92, v76, s15, -v91
	v_add_f16_e32 v2, v3, v2
	v_fma_f16 v3, v64, s6, -v78
	v_fma_f16 v120, v33, s23, v119
	v_add_f16_e32 v84, v92, v84
	v_mul_f16_e32 v92, 0x394e, v80
	v_add_f16_e32 v2, v3, v2
	v_fma_f16 v3, v30, s7, v81
	v_add_f16_e32 v117, v120, v117
	v_mul_f16_e32 v120, 0x388b, v67
	v_fma_f16 v93, v79, s14, -v92
	v_add_f16_e32 v3, v24, v3
	v_fma_f16 v4, v73, s9, v87
	v_fma_f16 v121, v28, s16, v120
	v_add_f16_e32 v84, v93, v84
	v_mul_f16_e32 v93, 0x3bf1, v83
	v_add_f16_e32 v3, v4, v3
	v_fma_f16 v4, v76, s15, v91
	v_add_f16_e32 v117, v121, v117
	v_mul_f16_e32 v121, 0xb5ac, v68
	v_fma_f16 v94, v82, s8, -v93
	v_add_f16_e32 v3, v4, v3
	v_fma_f16 v4, v79, s14, v92
	v_fma_f16 v122, v29, s24, v121
	v_add_f16_e32 v84, v94, v84
	v_mul_f16_e32 v94, 0x3770, v86
	v_add_f16_e32 v3, v4, v3
	v_fma_f16 v4, v82, s8, v93
	v_add_f16_e32 v117, v122, v117
	v_mul_f16_e32 v122, 0x2fb7, v64
	v_fma_f16 v116, v25, s20, v116
	v_fma_f16 v102, v25, s19, v102
	v_mul_f16_e32 v25, 0xb770, v25
	v_add_f16_e32 v3, v4, v3
	v_fma_f16 v4, v85, s6, v94
	v_fma_f16 v123, v26, s17, v122
	v_add_f16_e32 v116, v59, v116
	v_fma_f16 v118, v32, s22, v118
	v_add_f16_e32 v102, v59, v102
	v_fma_f16 v104, v32, s25, v104
	v_mul_f16_e32 v32, 0xba95, v32
	v_add_f16_e32 v3, v4, v3
	v_fma_f16 v4, v38, s6, -v25
	v_add_f16_e32 v117, v123, v117
	v_mul_f16_e32 v123, 0xb3a8, v61
	v_add_f16_e32 v116, v118, v116
	v_fma_f16 v118, v33, s19, v119
	v_add_f16_e32 v102, v104, v102
	v_fma_f16 v104, v33, s16, v105
	v_fma_f16 v95, v85, s6, -v94
	v_mul_f16_e32 v33, 0xbbf1, v33
	v_add_f16_e32 v4, v59, v4
	v_fma_f16 v5, v43, s7, -v32
	v_fma_f16 v124, v30, s15, v123
	v_mul_f16_e32 v125, 0x3770, v74
	v_add_f16_e32 v116, v118, v116
	v_fma_f16 v118, v28, s27, v120
	v_add_f16_e32 v102, v104, v102
	v_fma_f16 v104, v28, s26, v106
	;; [unrolled: 2-line block ×3, first 2 shown]
	v_mul_f16_e32 v28, 0xbb7b, v28
	v_add_f16_e32 v4, v5, v4
	v_fma_f16 v5, v46, s8, -v33
	v_add_f16_e32 v124, v24, v124
	v_fma_f16 v126, v73, s6, v125
	v_add_f16_e32 v116, v118, v116
	v_fma_f16 v118, v29, s21, v121
	;; [unrolled: 2-line block ×4, first 2 shown]
	v_mul_f16_e32 v29, 0xb94e, v29
	v_add_f16_e32 v1, v59, v37
	v_add_f16_e32 v4, v5, v4
	v_fma_f16 v5, v67, s9, -v28
	v_add_f16_e32 v124, v126, v124
	v_mul_f16_e32 v126, 0xb94e, v77
	v_add_f16_e32 v116, v118, v116
	v_fma_f16 v118, v26, s25, v122
	v_add_f16_e32 v102, v104, v102
	v_fma_f16 v104, v26, s21, v108
	;; [unrolled: 2-line block ×3, first 2 shown]
	v_mul_f16_e32 v26, 0xb3a8, v26
	v_add_f16_e32 v1, v1, v42
	v_add_f16_e32 v4, v5, v4
	v_fma_f16 v5, v68, s14, -v29
	v_fma_f16 v127, v76, s14, v126
	v_add_f16_e32 v95, v97, v95
	v_fma_f16 v97, v67, s9, v28
	v_mul_f16_e32 v61, 0xb770, v61
	v_add_f16_e32 v1, v1, v45
	v_add_f16_e32 v4, v5, v4
	v_fma_f16 v5, v64, s15, -v26
	v_add_f16_e32 v124, v127, v124
	v_mul_f16_e32 v127, 0x3a95, v80
	v_add_f16_e32 v95, v97, v95
	v_fma_f16 v97, v68, s14, v29
	v_mul_f16_e32 v74, 0xba95, v74
	v_add_f16_e32 v1, v1, v65
	v_add_f16_e32 v4, v5, v4
	v_fma_f16 v5, v30, s6, v61
	v_fma_f16 v128, v79, s7, v127
	v_add_f16_e32 v95, v97, v95
	v_fma_f16 v97, v64, s15, v26
	v_mul_f16_e32 v77, 0xbbf1, v77
	v_add_f16_e32 v1, v1, v66
	v_add_f16_e32 v5, v24, v5
	v_fma_f16 v6, v73, s7, v74
	v_add_f16_e32 v124, v128, v124
	v_mul_f16_e32 v128, 0xbb7b, v83
	v_add_f16_e32 v95, v97, v95
	v_fma_f16 v97, v30, s6, -v61
	v_mul_f16_e32 v80, 0xbb7b, v80
	v_add_f16_e32 v1, v1, v63
	v_add_f16_e32 v5, v6, v5
	v_fma_f16 v6, v76, s8, v77
	v_fma_f16 v129, v82, s9, v128
	v_add_f16_e32 v97, v24, v97
	v_fma_f16 v98, v73, s7, -v74
	v_mul_f16_e32 v83, 0xb94e, v83
	v_add_f16_e32 v1, v1, v31
	v_add_f16_e32 v5, v6, v5
	v_fma_f16 v6, v79, s9, v80
	v_add_f16_e32 v124, v129, v124
	v_mul_f16_e32 v129, 0x3bf1, v86
	v_add_f16_e32 v102, v104, v102
	v_fma_f16 v104, v30, s14, -v109
	v_add_f16_e32 v97, v98, v97
	v_fma_f16 v98, v76, s8, -v77
	v_mul_f16_e32 v86, 0xb3a8, v86
	v_add_f16_e32 v1, v1, v34
	v_add_f16_e32 v5, v6, v5
	v_fma_f16 v6, v82, s14, v83
	v_add_f16_e32 v116, v118, v116
	v_fma_f16 v118, v30, s15, -v123
	v_add_f16_e32 v104, v24, v104
	v_fma_f16 v105, v73, s8, -v111
	;; [unrolled: 2-line block ×3, first 2 shown]
	v_add_f16_e32 v0, v0, v8
	v_add_f16_e32 v1, v1, v35
	;; [unrolled: 1-line block ×3, first 2 shown]
	v_fma_f16 v6, v85, s15, v86
	v_add_f16_e32 v118, v24, v118
	v_fma_f16 v119, v73, s6, -v125
	v_add_f16_e32 v104, v105, v104
	v_fma_f16 v105, v76, s7, -v112
	;; [unrolled: 2-line block ×3, first 2 shown]
	v_add_f16_e32 v0, v0, v9
	v_add_f16_e32 v1, v1, v40
	v_add_f16_e32 v5, v6, v5
	v_lshrrev_b32_e32 v6, 2, v58
	v_add_f16_e32 v118, v119, v118
	v_fma_f16 v119, v76, s14, -v126
	v_add_f16_e32 v104, v105, v104
	v_fma_f16 v105, v79, s15, -v113
	v_add_f16_e32 v97, v98, v97
	v_fma_f16 v98, v85, s15, -v86
	v_add_f16_e32 v0, v0, v10
	v_add_f16_e32 v1, v1, v41
	v_mul_u32_u24_e32 v6, 52, v6
	v_add_f16_e32 v118, v119, v118
	v_fma_f16 v119, v79, s7, -v127
	v_add_f16_e32 v104, v105, v104
	v_fma_f16 v105, v82, s6, -v114
	v_add_f16_e32 v97, v98, v97
	v_add_f16_e32 v0, v0, v11
	;; [unrolled: 1-line block ×3, first 2 shown]
	v_or_b32_e32 v6, v6, v60
	v_add_f16_e32 v118, v119, v118
	v_fma_f16 v119, v82, s9, -v128
	v_add_f16_e32 v104, v105, v104
	v_fma_f16 v105, v85, s9, -v115
	v_lshl_add_u32 v6, v6, 2, 0
	v_pack_b32_f16 v0, v0, v1
	v_pack_b32_f16 v1, v97, v95
	v_fma_f16 v130, v85, s8, v129
	v_add_f16_e32 v118, v119, v118
	v_fma_f16 v119, v85, s8, -v129
	v_add_f16_e32 v104, v105, v104
	ds_write2_b32 v6, v0, v1 offset1:4
	v_pack_b32_f16 v0, v84, v62
	v_pack_b32_f16 v1, v44, v39
	v_add_f16_e32 v124, v130, v124
	v_add_f16_e32 v118, v119, v118
	ds_write2_b32 v6, v0, v1 offset0:8 offset1:12
	v_pack_b32_f16 v0, v90, v88
	v_pack_b32_f16 v1, v104, v102
	ds_write2_b32 v6, v0, v1 offset0:16 offset1:20
	v_pack_b32_f16 v0, v118, v116
	v_pack_b32_f16 v1, v124, v117
	;; [unrolled: 3-line block ×4, first 2 shown]
	ds_write2_b32 v6, v0, v1 offset0:40 offset1:44
	v_pack_b32_f16 v0, v5, v4
	ds_write_b32 v6, v0 offset:192
.LBB0_23:
	s_or_b64 exec, exec, s[4:5]
	s_movk_i32 s4, 0x4ec5
	v_mul_u32_u24_sdwa v11, v51, s4 dst_sel:DWORD dst_unused:UNUSED_PAD src0_sel:WORD_0 src1_sel:DWORD
	v_lshrrev_b32_e32 v2, 20, v11
	v_mul_lo_u16_e32 v2, 52, v2
	v_sub_u16_e32 v2, v51, v2
	v_mul_u32_u24_sdwa v35, v50, s4 dst_sel:DWORD dst_unused:UNUSED_PAD src0_sel:WORD_0 src1_sel:DWORD
	v_lshlrev_b32_e32 v34, 2, v2
	v_lshrrev_b32_e32 v2, 20, v35
	v_mul_lo_u16_e32 v2, 52, v2
	v_sub_u16_e32 v2, v50, v2
	v_mul_u32_u24_sdwa v40, v49, s4 dst_sel:DWORD dst_unused:UNUSED_PAD src0_sel:WORD_0 src1_sel:DWORD
	v_lshlrev_b32_e32 v36, 2, v2
	;; [unrolled: 5-line block ×3, first 2 shown]
	v_lshrrev_b32_e32 v2, 20, v42
	v_mul_lo_u16_e32 v2, 52, v2
	v_sub_u16_e32 v2, v15, v2
	v_lshlrev_b32_e32 v38, 2, v2
	v_mul_u32_u24_sdwa v2, v56, s4 dst_sel:DWORD dst_unused:UNUSED_PAD src0_sel:WORD_0 src1_sel:DWORD
	v_lshrrev_b32_e32 v2, 20, v2
	v_mul_lo_u16_e32 v2, 52, v2
	v_sub_u16_e32 v2, v56, v2
	v_lshlrev_b32_e32 v39, 2, v2
	v_mul_u32_u24_sdwa v2, v57, s4 dst_sel:DWORD dst_unused:UNUSED_PAD src0_sel:WORD_0 src1_sel:DWORD
	v_lshrrev_b32_e32 v2, 20, v2
	v_mul_lo_u16_e32 v2, 52, v2
	v_mov_b32_e32 v8, s13
	v_add_co_u32_e32 v0, vcc, s12, v21
	v_sub_u16_e32 v2, v57, v2
	s_waitcnt lgkmcnt(0)
	; wave barrier
	s_waitcnt lgkmcnt(0)
	v_addc_co_u32_e32 v1, vcc, v8, v22, vcc
	v_lshlrev_b32_e32 v41, 2, v2
	global_load_dword v43, v34, s[12:13] offset:200
	global_load_dword v44, v36, s[12:13] offset:200
	;; [unrolled: 1-line block ×6, first 2 shown]
	global_load_dword v57, v[0:1], off offset:200
	v_mul_u32_u24_sdwa v2, v55, s4 dst_sel:DWORD dst_unused:UNUSED_PAD src0_sel:WORD_0 src1_sel:DWORD
	v_lshrrev_b32_e32 v2, 20, v2
	v_mul_lo_u16_e32 v2, 52, v2
	v_sub_u16_e32 v2, v55, v2
	v_lshlrev_b32_e32 v55, 2, v2
	global_load_dword v58, v55, s[12:13] offset:200
	v_mul_u32_u24_sdwa v2, v54, s4 dst_sel:DWORD dst_unused:UNUSED_PAD src0_sel:WORD_0 src1_sel:DWORD
	v_lshrrev_b32_e32 v2, 20, v2
	v_mul_lo_u16_e32 v2, 52, v2
	v_sub_u16_e32 v2, v54, v2
	v_lshlrev_b32_e32 v54, 2, v2
	global_load_dword v59, v54, s[12:13] offset:200
	s_movk_i32 s4, 0x4f
	v_mul_lo_u16_sdwa v2, v53, s4 dst_sel:DWORD dst_unused:UNUSED_PAD src0_sel:BYTE_0 src1_sel:DWORD
	v_lshrrev_b16_e32 v2, 12, v2
	v_mul_lo_u16_sdwa v62, v52, s4 dst_sel:DWORD dst_unused:UNUSED_PAD src0_sel:BYTE_0 src1_sel:DWORD
	v_mul_lo_u16_e32 v2, 52, v2
	v_lshrrev_b16_e32 v62, 12, v62
	v_mov_b32_e32 v60, 2
	v_sub_u16_e32 v2, v53, v2
	v_mul_lo_u16_e32 v62, 52, v62
	v_lshlrev_b32_sdwa v53, v60, v2 dst_sel:DWORD dst_unused:UNUSED_PAD src0_sel:DWORD src1_sel:BYTE_0
	global_load_dword v61, v53, s[12:13] offset:200
	v_sub_u16_e32 v52, v52, v62
	v_add_u32_e32 v2, 0x800, v48
	v_lshlrev_b32_sdwa v52, v60, v52 dst_sel:DWORD dst_unused:UNUSED_PAD src0_sel:DWORD src1_sel:BYTE_0
	ds_read2_b32 v[6:7], v48 offset1:52
	ds_read2_b32 v[9:10], v48 offset0:104 offset1:156
	v_add_u32_e32 v5, 0xa00, v48
	v_add_u32_e32 v4, 0x200, v48
	;; [unrolled: 1-line block ×3, first 2 shown]
	ds_read2_b32 v[21:22], v2 offset0:112 offset1:164
	ds_read2_b32 v[24:25], v5 offset0:88 offset1:140
	;; [unrolled: 1-line block ×6, first 2 shown]
	global_load_dword v60, v52, s[12:13] offset:200
	s_mov_b32 s5, 0xffff
	v_add_u32_e32 v65, 0, v34
	v_add_u32_e32 v52, 0, v52
	;; [unrolled: 1-line block ×10, first 2 shown]
	v_lshrrev_b32_e32 v11, 21, v11
	v_mul_lo_u16_e32 v11, 0x68, v11
	v_sub_u16_e32 v11, v51, v11
	v_lshrrev_b32_e32 v40, 21, v40
	v_mul_lo_u16_e32 v40, 0x68, v40
	v_lshrrev_b32_e32 v42, 21, v42
	v_mul_lo_u16_e32 v42, 0x68, v42
	v_sub_u16_e32 v15, v15, v42
	v_lshlrev_b32_e32 v42, 3, v15
	s_movk_i32 s4, 0x3aee
	s_waitcnt vmcnt(4) lgkmcnt(5)
	v_pk_mul_f16 v62, v57, v21 op_sel:[0,1]
	v_pk_fma_f16 v64, v57, v21, v62 op_sel:[0,0,1] op_sel_hi:[1,1,0] neg_lo:[0,0,1] neg_hi:[0,0,1]
	v_pk_fma_f16 v21, v57, v21, v62 op_sel:[0,0,1] op_sel_hi:[1,0,0]
	v_bfi_b32 v21, s5, v64, v21
	v_pk_mul_f16 v63, v57, v22 op_sel:[0,1]
	v_pk_add_f16 v62, v6, v21 neg_lo:[0,1] neg_hi:[0,1]
	v_pk_fma_f16 v64, v6, 2.0, v62 op_sel_hi:[1,0,1] neg_lo:[0,0,1] neg_hi:[0,0,1]
	v_pk_fma_f16 v6, v57, v22, v63 op_sel:[0,0,1] op_sel_hi:[1,1,0] neg_lo:[0,0,1] neg_hi:[0,0,1]
	v_pk_fma_f16 v21, v57, v22, v63 op_sel:[0,0,1] op_sel_hi:[1,0,0]
	v_bfi_b32 v6, s5, v6, v21
	v_pk_add_f16 v57, v7, v6 neg_lo:[0,1] neg_hi:[0,1]
	v_add_u32_e32 v6, 0x1000, v48
	ds_read2_b32 v[21:22], v6 offset0:120 offset1:172
	v_pk_fma_f16 v63, v7, 2.0, v57 op_sel_hi:[1,0,1] neg_lo:[0,0,1] neg_hi:[0,0,1]
	s_waitcnt vmcnt(3) lgkmcnt(0)
	v_pk_mul_f16 v7, v22, v58 op_sel:[0,1]
	v_pk_fma_f16 v34, v22, v58, v7 op_sel:[0,0,1] op_sel_hi:[1,1,0] neg_lo:[0,0,1] neg_hi:[0,0,1]
	v_pk_fma_f16 v7, v22, v58, v7 op_sel:[0,0,1] op_sel_hi:[1,0,0]
	v_bfi_b32 v7, s5, v34, v7
	v_pk_add_f16 v58, v33, v7 neg_lo:[0,1] neg_hi:[0,1]
	v_pk_fma_f16 v66, v33, 2.0, v58 op_sel_hi:[1,0,1] neg_lo:[0,0,1] neg_hi:[0,0,1]
	ds_read2_b32 v[33:34], v6 offset0:16 offset1:68
	s_waitcnt vmcnt(2)
	v_pk_mul_f16 v7, v21, v59 op_sel:[0,1]
	v_pk_fma_f16 v22, v21, v59, v7 op_sel:[0,0,1] op_sel_hi:[1,1,0] neg_lo:[0,0,1] neg_hi:[0,0,1]
	v_pk_fma_f16 v7, v21, v59, v7 op_sel:[0,0,1] op_sel_hi:[1,0,0]
	v_bfi_b32 v7, s5, v22, v7
	v_pk_add_f16 v59, v32, v7 neg_lo:[0,1] neg_hi:[0,1]
	s_waitcnt lgkmcnt(0)
	v_pk_mul_f16 v7, v34, v56 op_sel:[0,1]
	v_pk_fma_f16 v21, v34, v56, v7 op_sel:[0,0,1] op_sel_hi:[1,1,0] neg_lo:[0,0,1] neg_hi:[0,0,1]
	v_pk_fma_f16 v7, v34, v56, v7 op_sel:[0,0,1] op_sel_hi:[1,0,0]
	v_bfi_b32 v7, s5, v21, v7
	v_pk_add_f16 v34, v31, v7 neg_lo:[0,1] neg_hi:[0,1]
	v_add_u32_e32 v7, 0xc00, v48
	ds_read2_b32 v[21:22], v7 offset0:168 offset1:220
	v_pk_mul_f16 v56, v33, v47 op_sel:[0,1]
	v_pk_fma_f16 v67, v33, v47, v56 op_sel:[0,0,1] op_sel_hi:[1,1,0] neg_lo:[0,0,1] neg_hi:[0,0,1]
	v_pk_fma_f16 v33, v33, v47, v56 op_sel:[0,0,1] op_sel_hi:[1,0,0]
	v_bfi_b32 v33, s5, v67, v33
	v_pk_add_f16 v33, v30, v33 neg_lo:[0,1] neg_hi:[0,1]
	v_pk_fma_f16 v47, v30, 2.0, v33 op_sel_hi:[1,0,1] neg_lo:[0,0,1] neg_hi:[0,0,1]
	s_waitcnt lgkmcnt(0)
	v_pk_mul_f16 v30, v22, v46 op_sel:[0,1]
	v_pk_fma_f16 v56, v22, v46, v30 op_sel:[0,0,1] op_sel_hi:[1,1,0] neg_lo:[0,0,1] neg_hi:[0,0,1]
	v_pk_fma_f16 v22, v22, v46, v30 op_sel:[0,0,1] op_sel_hi:[1,0,0]
	v_bfi_b32 v22, s5, v56, v22
	v_pk_add_f16 v22, v29, v22 neg_lo:[0,1] neg_hi:[0,1]
	v_pk_fma_f16 v46, v29, 2.0, v22 op_sel_hi:[1,0,1] neg_lo:[0,0,1] neg_hi:[0,0,1]
	ds_read2_b32 v[29:30], v7 offset0:64 offset1:116
	v_pk_mul_f16 v56, v21, v45 op_sel:[0,1]
	v_pk_fma_f16 v67, v21, v45, v56 op_sel:[0,0,1] op_sel_hi:[1,1,0] neg_lo:[0,0,1] neg_hi:[0,0,1]
	v_pk_fma_f16 v21, v21, v45, v56 op_sel:[0,0,1] op_sel_hi:[1,0,0]
	s_waitcnt lgkmcnt(0)
	v_pk_mul_f16 v45, v30, v44 op_sel:[0,1]
	v_pk_fma_f16 v56, v30, v44, v45 op_sel:[0,0,1] op_sel_hi:[1,1,0] neg_lo:[0,0,1] neg_hi:[0,0,1]
	v_pk_fma_f16 v30, v30, v44, v45 op_sel:[0,0,1] op_sel_hi:[1,0,0]
	v_pk_mul_f16 v44, v29, v43 op_sel:[0,1]
	v_pk_fma_f16 v45, v29, v43, v44 op_sel:[0,0,1] op_sel_hi:[1,1,0] neg_lo:[0,0,1] neg_hi:[0,0,1]
	v_pk_fma_f16 v29, v29, v43, v44 op_sel:[0,0,1] op_sel_hi:[1,0,0]
	s_waitcnt vmcnt(1)
	v_pk_mul_f16 v43, v25, v61 op_sel:[0,1]
	v_pk_fma_f16 v44, v25, v61, v43 op_sel:[0,0,1] op_sel_hi:[1,1,0] neg_lo:[0,0,1] neg_hi:[0,0,1]
	v_pk_fma_f16 v25, v25, v61, v43 op_sel:[0,0,1] op_sel_hi:[1,0,0]
	s_waitcnt vmcnt(0)
	v_pk_mul_f16 v43, v60, v24 op_sel:[0,1]
	v_bfi_b32 v25, s5, v44, v25
	v_pk_fma_f16 v44, v60, v24, v43 op_sel:[0,0,1] op_sel_hi:[1,1,0] neg_lo:[0,0,1] neg_hi:[0,0,1]
	v_pk_fma_f16 v24, v60, v24, v43 op_sel:[0,0,1] op_sel_hi:[1,0,0]
	v_bfi_b32 v24, s5, v44, v24
	v_pk_add_f16 v24, v9, v24 neg_lo:[0,1] neg_hi:[0,1]
	v_bfi_b32 v29, s5, v45, v29
	v_pk_add_f16 v25, v10, v25 neg_lo:[0,1] neg_hi:[0,1]
	v_pk_fma_f16 v9, v9, 2.0, v24 op_sel_hi:[1,0,1] neg_lo:[0,0,1] neg_hi:[0,0,1]
	v_add_u32_e32 v43, 0x200, v52
	v_bfi_b32 v30, s5, v56, v30
	v_pk_add_f16 v29, v26, v29 neg_lo:[0,1] neg_hi:[0,1]
	v_pk_fma_f16 v10, v10, 2.0, v25 op_sel_hi:[1,0,1] neg_lo:[0,0,1] neg_hi:[0,0,1]
	; wave barrier
	ds_write2_b32 v48, v64, v62 offset1:52
	ds_write2_b32 v48, v63, v57 offset0:104 offset1:156
	ds_write2_b32 v43, v9, v24 offset0:80 offset1:132
	v_add_u32_e32 v9, 0x400, v53
	v_bfi_b32 v21, s5, v67, v21
	v_pk_add_f16 v30, v27, v30 neg_lo:[0,1] neg_hi:[0,1]
	v_pk_fma_f16 v26, v26, 2.0, v29 op_sel_hi:[1,0,1] neg_lo:[0,0,1] neg_hi:[0,0,1]
	ds_write2_b32 v9, v10, v25 offset0:56 offset1:108
	v_add_u32_e32 v9, 0x400, v65
	v_pk_add_f16 v21, v28, v21 neg_lo:[0,1] neg_hi:[0,1]
	v_pk_fma_f16 v27, v27, 2.0, v30 op_sel_hi:[1,0,1] neg_lo:[0,0,1] neg_hi:[0,0,1]
	ds_write2_b32 v9, v26, v29 offset0:160 offset1:212
	v_add_u32_e32 v9, 0x800, v36
	v_pk_fma_f16 v28, v28, 2.0, v21 op_sel_hi:[1,0,1] neg_lo:[0,0,1] neg_hi:[0,0,1]
	ds_write2_b32 v9, v27, v30 offset0:8 offset1:60
	v_add_u32_e32 v9, 0x800, v37
	ds_write2_b32 v9, v28, v21 offset0:112 offset1:164
	v_add_u32_e32 v9, 0xa00, v38
	;; [unrolled: 2-line block ×3, first 2 shown]
	v_pk_fma_f16 v31, v31, 2.0, v34 op_sel_hi:[1,0,1] neg_lo:[0,0,1] neg_hi:[0,0,1]
	ds_write2_b32 v9, v47, v33 offset0:64 offset1:116
	v_add_u32_e32 v9, 0xc00, v41
	v_pk_fma_f16 v32, v32, 2.0, v59 op_sel_hi:[1,0,1] neg_lo:[0,0,1] neg_hi:[0,0,1]
	ds_write2_b32 v9, v31, v34 offset0:168 offset1:220
	v_add_u32_e32 v9, 0x1000, v54
	ds_write2_b32 v9, v32, v59 offset0:16 offset1:68
	v_add_u32_e32 v9, 0x1000, v55
	v_mov_b32_e32 v21, 0
	ds_write2_b32 v9, v66, v58 offset0:120 offset1:172
	v_lshlrev_b64 v[9:10], 2, v[20:21]
	s_waitcnt lgkmcnt(0)
	v_add_co_u32_e32 v9, vcc, s12, v9
	v_addc_co_u32_e32 v10, vcc, v8, v10, vcc
	; wave barrier
	global_load_dwordx2 v[9:10], v[9:10], off offset:408
	v_mov_b32_e32 v24, v21
	v_lshlrev_b64 v[22:23], 2, v[23:24]
	v_lshlrev_b32_e32 v30, 3, v11
	v_add_co_u32_e32 v22, vcc, s12, v22
	v_addc_co_u32_e32 v23, vcc, v8, v23, vcc
	global_load_dwordx2 v[22:23], v[22:23], off offset:408
	ds_read2_b32 v[24:25], v48 offset1:52
	ds_read2_b32 v[26:27], v3 offset0:160 offset1:212
	ds_read2_b32 v[28:29], v7 offset0:64 offset1:116
	global_load_dwordx2 v[30:31], v30, s[12:13] offset:408
	v_lshrrev_b32_e32 v34, 21, v35
	v_mul_lo_u16_e32 v34, 0x68, v34
	v_sub_u16_e32 v59, v50, v34
	v_lshlrev_b32_e32 v34, 3, v59
	global_load_dwordx2 v[34:35], v34, s[12:13] offset:408
	v_sub_u16_e32 v61, v49, v40
	v_lshlrev_b32_e32 v40, 3, v61
	ds_read2_b32 v[32:33], v48 offset0:104 offset1:156
	ds_read2_b32 v[36:37], v2 offset0:8 offset1:60
	;; [unrolled: 1-line block ×3, first 2 shown]
	global_load_dwordx2 v[40:41], v40, s[12:13] offset:408
	s_waitcnt lgkmcnt(4)
	v_lshrrev_b32_e32 v79, 16, v26
	global_load_dwordx2 v[42:43], v42, s[12:13] offset:408
	s_waitcnt lgkmcnt(3)
	v_lshrrev_b32_e32 v58, 16, v29
	s_waitcnt lgkmcnt(1)
	v_lshrrev_b32_e32 v62, 16, v36
	;; [unrolled: 2-line block ×3, first 2 shown]
	ds_read2_b32 v[44:45], v4 offset0:80 offset1:132
	ds_read2_b32 v[46:47], v2 offset0:112 offset1:164
	;; [unrolled: 1-line block ×3, first 2 shown]
	v_lshrrev_b32_e32 v65, 16, v37
	v_lshrrev_b32_e32 v66, 16, v39
	ds_read2_b32 v[51:52], v3 offset0:56 offset1:108
	ds_read2_b32 v[53:54], v5 offset0:88 offset1:140
	;; [unrolled: 1-line block ×3, first 2 shown]
	s_waitcnt lgkmcnt(4)
	v_lshrrev_b32_e32 v68, 16, v46
	s_waitcnt lgkmcnt(3)
	v_lshrrev_b32_e32 v69, 16, v49
	v_lshrrev_b32_e32 v71, 16, v47
	;; [unrolled: 1-line block ×3, first 2 shown]
	s_waitcnt lgkmcnt(1)
	v_lshrrev_b32_e32 v74, 16, v53
	s_waitcnt lgkmcnt(0)
	v_lshrrev_b32_e32 v75, 16, v55
	v_lshrrev_b32_e32 v77, 16, v54
	;; [unrolled: 1-line block ×4, first 2 shown]
	s_mov_b32 s5, 0xbaee
	v_lshrrev_b32_e32 v57, 16, v25
	v_lshrrev_b32_e32 v60, 16, v32
	;; [unrolled: 1-line block ×7, first 2 shown]
	s_waitcnt lgkmcnt(0)
	; wave barrier
	s_waitcnt vmcnt(5)
	v_mul_f16_sdwa v80, v9, v79 dst_sel:DWORD dst_unused:UNUSED_PAD src0_sel:WORD_1 src1_sel:DWORD
	v_fma_f16 v80, v9, v26, -v80
	v_mul_f16_sdwa v26, v9, v26 dst_sel:DWORD dst_unused:UNUSED_PAD src0_sel:WORD_1 src1_sel:DWORD
	v_fma_f16 v26, v9, v79, v26
	v_lshrrev_b32_e32 v79, 16, v28
	v_mul_f16_sdwa v81, v10, v79 dst_sel:DWORD dst_unused:UNUSED_PAD src0_sel:WORD_1 src1_sel:DWORD
	v_fma_f16 v81, v10, v28, -v81
	v_mul_f16_sdwa v28, v10, v28 dst_sel:DWORD dst_unused:UNUSED_PAD src0_sel:WORD_1 src1_sel:DWORD
	v_fma_f16 v28, v10, v79, v28
	v_lshrrev_b32_e32 v79, 16, v27
	s_waitcnt vmcnt(4)
	v_mul_f16_sdwa v82, v22, v79 dst_sel:DWORD dst_unused:UNUSED_PAD src0_sel:WORD_1 src1_sel:DWORD
	v_fma_f16 v82, v22, v27, -v82
	v_mul_f16_sdwa v27, v22, v27 dst_sel:DWORD dst_unused:UNUSED_PAD src0_sel:WORD_1 src1_sel:DWORD
	v_fma_f16 v27, v22, v79, v27
	v_mul_f16_sdwa v79, v58, v23 dst_sel:DWORD dst_unused:UNUSED_PAD src0_sel:DWORD src1_sel:WORD_1
	v_fma_f16 v79, v29, v23, -v79
	v_mul_f16_sdwa v29, v29, v23 dst_sel:DWORD dst_unused:UNUSED_PAD src0_sel:DWORD src1_sel:WORD_1
	v_fma_f16 v29, v58, v23, v29
	v_mul_f16_sdwa v58, v62, v9 dst_sel:DWORD dst_unused:UNUSED_PAD src0_sel:DWORD src1_sel:WORD_1
	v_fma_f16 v58, v36, v9, -v58
	v_mul_f16_sdwa v36, v36, v9 dst_sel:DWORD dst_unused:UNUSED_PAD src0_sel:DWORD src1_sel:WORD_1
	;; [unrolled: 4-line block ×5, first 2 shown]
	v_fma_f16 v23, v66, v23, v39
	s_waitcnt vmcnt(3)
	v_mul_f16_sdwa v39, v68, v30 dst_sel:DWORD dst_unused:UNUSED_PAD src0_sel:DWORD src1_sel:WORD_1
	v_fma_f16 v39, v46, v30, -v39
	v_mul_f16_sdwa v46, v46, v30 dst_sel:DWORD dst_unused:UNUSED_PAD src0_sel:DWORD src1_sel:WORD_1
	v_fma_f16 v30, v68, v30, v46
	v_mul_f16_sdwa v46, v69, v31 dst_sel:DWORD dst_unused:UNUSED_PAD src0_sel:DWORD src1_sel:WORD_1
	v_fma_f16 v46, v49, v31, -v46
	v_mul_f16_sdwa v49, v49, v31 dst_sel:DWORD dst_unused:UNUSED_PAD src0_sel:DWORD src1_sel:WORD_1
	v_fma_f16 v31, v69, v31, v49
	s_waitcnt vmcnt(2)
	v_mul_f16_sdwa v49, v71, v34 dst_sel:DWORD dst_unused:UNUSED_PAD src0_sel:DWORD src1_sel:WORD_1
	v_fma_f16 v49, v47, v34, -v49
	v_mul_f16_sdwa v47, v47, v34 dst_sel:DWORD dst_unused:UNUSED_PAD src0_sel:DWORD src1_sel:WORD_1
	v_fma_f16 v34, v71, v34, v47
	v_mul_f16_sdwa v47, v72, v35 dst_sel:DWORD dst_unused:UNUSED_PAD src0_sel:DWORD src1_sel:WORD_1
	v_fma_f16 v47, v50, v35, -v47
	v_mul_f16_sdwa v50, v50, v35 dst_sel:DWORD dst_unused:UNUSED_PAD src0_sel:DWORD src1_sel:WORD_1
	v_fma_f16 v35, v72, v35, v50
	s_waitcnt vmcnt(1)
	v_mul_f16_sdwa v50, v74, v40 dst_sel:DWORD dst_unused:UNUSED_PAD src0_sel:DWORD src1_sel:WORD_1
	v_fma_f16 v50, v53, v40, -v50
	v_mul_f16_sdwa v53, v53, v40 dst_sel:DWORD dst_unused:UNUSED_PAD src0_sel:DWORD src1_sel:WORD_1
	v_fma_f16 v40, v74, v40, v53
	v_mul_f16_sdwa v53, v75, v41 dst_sel:DWORD dst_unused:UNUSED_PAD src0_sel:DWORD src1_sel:WORD_1
	v_fma_f16 v53, v55, v41, -v53
	v_mul_f16_sdwa v55, v55, v41 dst_sel:DWORD dst_unused:UNUSED_PAD src0_sel:DWORD src1_sel:WORD_1
	v_fma_f16 v41, v75, v41, v55
	s_waitcnt vmcnt(0)
	v_mul_f16_sdwa v55, v77, v42 dst_sel:DWORD dst_unused:UNUSED_PAD src0_sel:DWORD src1_sel:WORD_1
	v_fma_f16 v55, v54, v42, -v55
	v_mul_f16_sdwa v54, v54, v42 dst_sel:DWORD dst_unused:UNUSED_PAD src0_sel:DWORD src1_sel:WORD_1
	v_fma_f16 v42, v77, v42, v54
	v_mul_f16_sdwa v54, v78, v43 dst_sel:DWORD dst_unused:UNUSED_PAD src0_sel:DWORD src1_sel:WORD_1
	v_fma_f16 v54, v56, v43, -v54
	v_mul_f16_sdwa v56, v56, v43 dst_sel:DWORD dst_unused:UNUSED_PAD src0_sel:DWORD src1_sel:WORD_1
	v_add_f16_e32 v62, v80, v81
	v_fma_f16 v43, v78, v43, v56
	v_add_f16_e32 v56, v24, v80
	v_fma_f16 v24, v62, -0.5, v24
	v_sub_f16_e32 v62, v26, v28
	v_fma_f16 v63, v62, s4, v24
	v_fma_f16 v24, v62, s5, v24
	v_add_f16_e32 v62, v20, v26
	v_add_f16_e32 v26, v26, v28
	v_fma_f16 v20, v26, -0.5, v20
	v_sub_f16_e32 v26, v80, v81
	v_add_f16_e32 v65, v82, v79
	v_add_f16_e32 v62, v62, v28
	v_fma_f16 v28, v26, s5, v20
	v_fma_f16 v20, v26, s4, v20
	v_add_f16_e32 v26, v25, v82
	v_fma_f16 v25, v65, -0.5, v25
	v_sub_f16_e32 v65, v27, v29
	v_fma_f16 v66, v65, s4, v25
	v_fma_f16 v25, v65, s5, v25
	v_add_f16_e32 v65, v57, v27
	v_add_f16_e32 v27, v27, v29
	;; [unrolled: 1-line block ×3, first 2 shown]
	v_fma_f16 v27, v27, -0.5, v57
	v_sub_f16_e32 v29, v82, v79
	v_add_f16_e32 v68, v58, v36
	v_fma_f16 v57, v29, s5, v27
	v_fma_f16 v27, v29, s4, v27
	v_add_f16_e32 v29, v32, v58
	v_fma_f16 v32, v68, -0.5, v32
	v_sub_f16_e32 v68, v9, v10
	v_fma_f16 v69, v68, s4, v32
	v_fma_f16 v32, v68, s5, v32
	v_add_f16_e32 v68, v60, v9
	v_add_f16_e32 v9, v9, v10
	;; [unrolled: 1-line block ×3, first 2 shown]
	v_fma_f16 v9, v9, -0.5, v60
	v_sub_f16_e32 v10, v58, v36
	v_add_f16_e32 v58, v38, v37
	v_add_f16_e32 v29, v29, v36
	v_fma_f16 v36, v10, s5, v9
	v_fma_f16 v9, v10, s4, v9
	v_add_f16_e32 v10, v33, v38
	v_fma_f16 v33, v58, -0.5, v33
	v_sub_f16_e32 v58, v22, v23
	v_fma_f16 v60, v58, s4, v33
	v_fma_f16 v33, v58, s5, v33
	v_add_f16_e32 v58, v64, v22
	v_add_f16_e32 v22, v22, v23
	;; [unrolled: 1-line block ×3, first 2 shown]
	v_fma_f16 v22, v22, -0.5, v64
	v_sub_f16_e32 v23, v38, v37
	v_add_f16_e32 v38, v39, v46
	v_add_f16_e32 v10, v10, v37
	v_fma_f16 v37, v23, s5, v22
	v_fma_f16 v22, v23, s4, v22
	v_add_f16_e32 v23, v44, v39
	v_fma_f16 v38, v38, -0.5, v44
	v_sub_f16_e32 v44, v30, v31
	v_fma_f16 v64, v44, s4, v38
	v_fma_f16 v38, v44, s5, v38
	v_add_f16_e32 v44, v67, v30
	v_add_f16_e32 v30, v30, v31
	;; [unrolled: 1-line block ×4, first 2 shown]
	v_fma_f16 v30, v30, -0.5, v67
	v_sub_f16_e32 v31, v39, v46
	v_add_f16_e32 v46, v49, v47
	v_fma_f16 v39, v31, s5, v30
	v_fma_f16 v30, v31, s4, v30
	v_add_f16_e32 v31, v45, v49
	v_fma_f16 v45, v46, -0.5, v45
	v_sub_f16_e32 v46, v34, v35
	v_fma_f16 v67, v46, s4, v45
	v_fma_f16 v45, v46, s5, v45
	v_add_f16_e32 v46, v70, v34
	v_add_f16_e32 v34, v34, v35
	;; [unrolled: 1-line block ×3, first 2 shown]
	v_fma_f16 v34, v34, -0.5, v70
	v_sub_f16_e32 v35, v49, v47
	v_add_f16_e32 v49, v50, v53
	v_add_f16_e32 v31, v31, v47
	v_fma_f16 v47, v35, s5, v34
	v_fma_f16 v34, v35, s4, v34
	v_add_f16_e32 v35, v51, v50
	v_fma_f16 v49, v49, -0.5, v51
	v_sub_f16_e32 v51, v40, v41
	v_fma_f16 v70, v51, s4, v49
	v_fma_f16 v49, v51, s5, v49
	v_add_f16_e32 v51, v73, v40
	v_add_f16_e32 v40, v40, v41
	;; [unrolled: 1-line block ×4, first 2 shown]
	v_fma_f16 v40, v40, -0.5, v73
	v_sub_f16_e32 v41, v50, v53
	v_add_f16_e32 v53, v55, v54
	v_fma_f16 v50, v41, s5, v40
	v_fma_f16 v40, v41, s4, v40
	v_add_f16_e32 v41, v52, v55
	v_fma_f16 v52, v53, -0.5, v52
	v_sub_f16_e32 v53, v42, v43
	v_fma_f16 v71, v53, s4, v52
	v_fma_f16 v52, v53, s5, v52
	v_add_f16_e32 v53, v76, v42
	v_add_f16_e32 v42, v42, v43
	;; [unrolled: 1-line block ×5, first 2 shown]
	v_fma_f16 v42, v42, -0.5, v76
	v_sub_f16_e32 v43, v55, v54
	v_add_f16_e32 v41, v41, v54
	v_fma_f16 v54, v43, s5, v42
	v_fma_f16 v42, v43, s4, v42
	v_pack_b32_f16 v43, v56, v62
	v_pack_b32_f16 v20, v24, v20
	;; [unrolled: 1-line block ×4, first 2 shown]
	ds_write2_b32 v48, v43, v24 offset1:52
	v_pack_b32_f16 v24, v66, v57
	ds_write2_b32 v48, v28, v24 offset0:104 offset1:156
	v_pack_b32_f16 v24, v25, v27
	ds_write2_b32 v4, v20, v24 offset0:80 offset1:132
	v_pack_b32_f16 v20, v29, v68
	v_pack_b32_f16 v10, v10, v58
	;; [unrolled: 1-line block ×3, first 2 shown]
	ds_write2_b32 v3, v20, v10 offset0:56 offset1:108
	v_pack_b32_f16 v10, v60, v37
	v_pack_b32_f16 v9, v32, v9
	ds_write2_b32 v3, v24, v10 offset0:160 offset1:212
	v_pack_b32_f16 v10, v33, v22
	ds_write2_b32 v2, v9, v10 offset0:8 offset1:60
	v_lshl_add_u32 v9, v11, 2, 0
	v_pack_b32_f16 v10, v23, v44
	v_pack_b32_f16 v11, v64, v39
	v_add_u32_e32 v20, 0x800, v9
	ds_write2_b32 v20, v10, v11 offset0:112 offset1:216
	v_pack_b32_f16 v10, v38, v30
	ds_write_b32 v9, v10 offset:3328
	v_lshl_add_u32 v9, v59, 2, 0
	v_pack_b32_f16 v10, v31, v46
	v_pack_b32_f16 v11, v67, v47
	v_add_u32_e32 v20, 0x800, v9
	ds_write2_b32 v20, v10, v11 offset0:112 offset1:216
	v_pack_b32_f16 v10, v45, v34
	ds_write_b32 v9, v10 offset:3328
	;; [unrolled: 7-line block ×4, first 2 shown]
	s_waitcnt lgkmcnt(0)
	; wave barrier
	s_waitcnt lgkmcnt(0)
	global_load_dword v11, v[0:1], off offset:1240
	v_add_co_u32_e32 v9, vcc, s12, v18
	v_addc_co_u32_e32 v10, vcc, v8, v19, vcc
	global_load_dword v8, v[9:10], off offset:1448
	global_load_dword v15, v[9:10], off offset:1656
	;; [unrolled: 1-line block ×5, first 2 shown]
	ds_read2_b32 v[18:19], v48 offset1:52
	ds_read2_b32 v[22:23], v48 offset0:104 offset1:156
	ds_read2_b32 v[24:25], v2 offset0:112 offset1:164
	;; [unrolled: 1-line block ×7, first 2 shown]
	s_waitcnt lgkmcnt(5)
	v_lshrrev_b32_e32 v68, 16, v24
	s_waitcnt lgkmcnt(4)
	v_lshrrev_b32_e32 v51, 16, v27
	;; [unrolled: 2-line block ×3, first 2 shown]
	v_lshrrev_b32_e32 v55, 16, v31
	s_waitcnt lgkmcnt(1)
	v_lshrrev_b32_e32 v57, 16, v34
	v_lshrrev_b32_e32 v59, 16, v35
	ds_read2_b32 v[32:33], v3 offset0:56 offset1:108
	ds_read2_b32 v[36:37], v3 offset0:160 offset1:212
	;; [unrolled: 1-line block ×4, first 2 shown]
	s_waitcnt lgkmcnt(4)
	v_lshrrev_b32_e32 v61, 16, v38
	v_lshrrev_b32_e32 v63, 16, v39
	;; [unrolled: 1-line block ×4, first 2 shown]
	s_waitcnt lgkmcnt(0)
	v_lshrrev_b32_e32 v65, 16, v42
	v_lshrrev_b32_e32 v67, 16, v43
	;; [unrolled: 1-line block ×10, first 2 shown]
	s_waitcnt lgkmcnt(0)
	; wave barrier
	v_lshrrev_b32_e32 v64, 16, v40
	v_lshrrev_b32_e32 v66, 16, v41
	s_movk_i32 s4, 0x1000
	s_waitcnt vmcnt(5)
	v_mul_f16_sdwa v69, v11, v68 dst_sel:DWORD dst_unused:UNUSED_PAD src0_sel:WORD_1 src1_sel:DWORD
	v_fma_f16 v69, v11, v24, -v69
	v_mul_f16_sdwa v24, v11, v24 dst_sel:DWORD dst_unused:UNUSED_PAD src0_sel:WORD_1 src1_sel:DWORD
	v_fma_f16 v24, v11, v68, v24
	v_lshrrev_b32_e32 v68, 16, v25
	s_waitcnt vmcnt(4)
	v_mul_f16_sdwa v70, v8, v68 dst_sel:DWORD dst_unused:UNUSED_PAD src0_sel:WORD_1 src1_sel:DWORD
	v_fma_f16 v70, v8, v25, -v70
	v_mul_f16_sdwa v25, v8, v25 dst_sel:DWORD dst_unused:UNUSED_PAD src0_sel:WORD_1 src1_sel:DWORD
	v_fma_f16 v25, v8, v68, v25
	v_lshrrev_b32_e32 v68, 16, v26
	s_waitcnt vmcnt(3)
	v_mul_f16_sdwa v71, v15, v68 dst_sel:DWORD dst_unused:UNUSED_PAD src0_sel:WORD_1 src1_sel:DWORD
	v_fma_f16 v71, v15, v26, -v71
	v_mul_f16_sdwa v26, v15, v26 dst_sel:DWORD dst_unused:UNUSED_PAD src0_sel:WORD_1 src1_sel:DWORD
	v_fma_f16 v26, v15, v68, v26
	s_waitcnt vmcnt(2)
	v_mul_f16_sdwa v68, v51, v20 dst_sel:DWORD dst_unused:UNUSED_PAD src0_sel:DWORD src1_sel:WORD_1
	v_fma_f16 v68, v27, v20, -v68
	v_mul_f16_sdwa v27, v27, v20 dst_sel:DWORD dst_unused:UNUSED_PAD src0_sel:DWORD src1_sel:WORD_1
	v_fma_f16 v27, v51, v20, v27
	s_waitcnt vmcnt(1)
	v_mul_f16_sdwa v51, v53, v44 dst_sel:DWORD dst_unused:UNUSED_PAD src0_sel:DWORD src1_sel:WORD_1
	v_fma_f16 v51, v30, v44, -v51
	v_mul_f16_sdwa v30, v30, v44 dst_sel:DWORD dst_unused:UNUSED_PAD src0_sel:DWORD src1_sel:WORD_1
	;; [unrolled: 5-line block ×3, first 2 shown]
	v_fma_f16 v31, v55, v45, v31
	v_mul_f16_sdwa v55, v57, v11 dst_sel:DWORD dst_unused:UNUSED_PAD src0_sel:DWORD src1_sel:WORD_1
	v_fma_f16 v55, v34, v11, -v55
	v_mul_f16_sdwa v34, v34, v11 dst_sel:DWORD dst_unused:UNUSED_PAD src0_sel:DWORD src1_sel:WORD_1
	v_fma_f16 v11, v57, v11, v34
	v_mul_f16_sdwa v34, v59, v8 dst_sel:DWORD dst_unused:UNUSED_PAD src0_sel:DWORD src1_sel:WORD_1
	v_fma_f16 v34, v35, v8, -v34
	v_mul_f16_sdwa v35, v35, v8 dst_sel:DWORD dst_unused:UNUSED_PAD src0_sel:DWORD src1_sel:WORD_1
	;; [unrolled: 4-line block ×6, first 2 shown]
	v_fma_f16 v43, v67, v45, v43
	v_sub_f16_e32 v45, v18, v69
	v_sub_f16_e32 v24, v46, v24
	;; [unrolled: 1-line block ×4, first 2 shown]
	v_fma_f16 v18, v18, 2.0, -v45
	v_fma_f16 v46, v46, 2.0, -v24
	;; [unrolled: 1-line block ×4, first 2 shown]
	v_sub_f16_e32 v59, v22, v71
	v_sub_f16_e32 v26, v49, v26
	;; [unrolled: 1-line block ×4, first 2 shown]
	v_pack_b32_f16 v18, v18, v46
	v_pack_b32_f16 v19, v19, v47
	v_fma_f16 v22, v22, 2.0, -v59
	v_fma_f16 v49, v49, 2.0, -v26
	;; [unrolled: 1-line block ×4, first 2 shown]
	v_sub_f16_e32 v55, v32, v55
	v_sub_f16_e32 v11, v56, v11
	v_sub_f16_e32 v34, v33, v34
	v_sub_f16_e32 v8, v58, v8
	v_sub_f16_e32 v35, v36, v35
	v_sub_f16_e32 v15, v60, v15
	v_sub_f16_e32 v38, v37, v38
	v_sub_f16_e32 v20, v62, v20
	v_pack_b32_f16 v24, v45, v24
	ds_write2_b32 v48, v18, v19 offset1:52
	v_pack_b32_f16 v18, v57, v25
	v_sub_f16_e32 v51, v28, v51
	v_sub_f16_e32 v30, v52, v30
	;; [unrolled: 1-line block ×4, first 2 shown]
	v_fma_f16 v56, v56, 2.0, -v11
	v_fma_f16 v58, v58, 2.0, -v8
	;; [unrolled: 1-line block ×6, first 2 shown]
	ds_write2_b32 v3, v24, v18 offset0:56 offset1:108
	v_pack_b32_f16 v18, v22, v49
	v_pack_b32_f16 v22, v23, v50
	;; [unrolled: 1-line block ×4, first 2 shown]
	v_fma_f16 v28, v28, 2.0, -v51
	v_fma_f16 v52, v52, 2.0, -v30
	;; [unrolled: 1-line block ×4, first 2 shown]
	v_sub_f16_e32 v39, v40, v39
	v_sub_f16_e32 v42, v64, v42
	;; [unrolled: 1-line block ×4, first 2 shown]
	v_pack_b32_f16 v19, v59, v26
	ds_write2_b32 v48, v18, v22 offset0:104 offset1:156
	v_pack_b32_f16 v18, v61, v27
	ds_write2_b32 v7, v11, v8 offset0:168 offset1:220
	v_pack_b32_f16 v8, v36, v60
	v_pack_b32_f16 v11, v35, v15
	;; [unrolled: 1-line block ×3, first 2 shown]
	v_fma_f16 v40, v40, 2.0, -v39
	v_fma_f16 v63, v64, 2.0, -v42
	;; [unrolled: 1-line block ×4, first 2 shown]
	ds_write2_b32 v3, v19, v18 offset0:160 offset1:212
	v_pack_b32_f16 v18, v28, v52
	v_pack_b32_f16 v22, v29, v54
	ds_write2_b32 v5, v8, v15 offset0:88 offset1:140
	v_pack_b32_f16 v8, v38, v20
	v_fma_f16 v32, v32, 2.0, -v55
	v_fma_f16 v33, v33, 2.0, -v34
	v_pack_b32_f16 v19, v51, v30
	ds_write2_b32 v4, v18, v22 offset0:80 offset1:132
	v_pack_b32_f16 v18, v53, v31
	ds_write2_b32 v6, v11, v8 offset0:16 offset1:68
	v_pack_b32_f16 v8, v40, v63
	v_pack_b32_f16 v15, v41, v64
	ds_write2_b32 v2, v19, v18 offset0:8 offset1:60
	v_pack_b32_f16 v18, v32, v56
	v_pack_b32_f16 v19, v33, v58
	;; [unrolled: 1-line block ×3, first 2 shown]
	ds_write2_b32 v7, v8, v15 offset0:64 offset1:116
	v_pack_b32_f16 v8, v44, v43
	ds_write2_b32 v2, v18, v19 offset0:112 offset1:164
	ds_write2_b32 v6, v11, v8 offset0:120 offset1:172
	s_waitcnt lgkmcnt(0)
	; wave barrier
	s_waitcnt lgkmcnt(0)
	global_load_dword v15, v[0:1], off offset:2488
	global_load_dword v20, v[9:10], off offset:2696
	;; [unrolled: 1-line block ×8, first 2 shown]
	v_add_co_u32_e32 v0, vcc, s4, v9
	v_addc_co_u32_e32 v1, vcc, 0, v10, vcc
	global_load_dword v44, v[0:1], off offset:56
	global_load_dword v45, v[0:1], off offset:264
	ds_read2_b32 v[8:9], v48 offset1:52
	global_load_dword v46, v[0:1], off offset:472
	global_load_dword v47, v[0:1], off offset:680
	ds_read2_b32 v[0:1], v48 offset0:104 offset1:156
	ds_read2_b32 v[10:11], v2 offset0:112 offset1:164
	;; [unrolled: 1-line block ×7, first 2 shown]
	s_waitcnt lgkmcnt(5)
	v_lshrrev_b32_e32 v70, 16, v10
	s_waitcnt lgkmcnt(4)
	v_lshrrev_b32_e32 v53, 16, v19
	;; [unrolled: 2-line block ×3, first 2 shown]
	v_lshrrev_b32_e32 v57, 16, v25
	ds_read2_b32 v[26:27], v3 offset0:56 offset1:108
	ds_read2_b32 v[30:31], v3 offset0:160 offset1:212
	;; [unrolled: 1-line block ×4, first 2 shown]
	s_waitcnt lgkmcnt(5)
	v_lshrrev_b32_e32 v59, 16, v28
	v_lshrrev_b32_e32 v61, 16, v29
	s_waitcnt lgkmcnt(4)
	v_lshrrev_b32_e32 v63, 16, v32
	v_lshrrev_b32_e32 v65, 16, v33
	;; [unrolled: 3-line block ×3, first 2 shown]
	v_lshrrev_b32_e32 v49, 16, v8
	v_lshrrev_b32_e32 v50, 16, v9
	;; [unrolled: 1-line block ×6, first 2 shown]
	s_waitcnt lgkmcnt(0)
	; wave barrier
	v_lshrrev_b32_e32 v58, 16, v26
	v_lshrrev_b32_e32 v60, 16, v27
	;; [unrolled: 1-line block ×6, first 2 shown]
	s_waitcnt vmcnt(11)
	v_mul_f16_sdwa v71, v15, v70 dst_sel:DWORD dst_unused:UNUSED_PAD src0_sel:WORD_1 src1_sel:DWORD
	v_fma_f16 v71, v15, v10, -v71
	v_mul_f16_sdwa v10, v15, v10 dst_sel:DWORD dst_unused:UNUSED_PAD src0_sel:WORD_1 src1_sel:DWORD
	v_fma_f16 v10, v15, v70, v10
	v_lshrrev_b32_e32 v15, 16, v11
	s_waitcnt vmcnt(10)
	v_mul_f16_sdwa v70, v20, v15 dst_sel:DWORD dst_unused:UNUSED_PAD src0_sel:WORD_1 src1_sel:DWORD
	v_fma_f16 v70, v20, v11, -v70
	v_mul_f16_sdwa v11, v20, v11 dst_sel:DWORD dst_unused:UNUSED_PAD src0_sel:WORD_1 src1_sel:DWORD
	v_fma_f16 v11, v20, v15, v11
	v_lshrrev_b32_e32 v15, 16, v18
	s_waitcnt vmcnt(9)
	v_mul_f16_sdwa v20, v38, v15 dst_sel:DWORD dst_unused:UNUSED_PAD src0_sel:WORD_1 src1_sel:DWORD
	v_fma_f16 v20, v38, v18, -v20
	v_mul_f16_sdwa v18, v38, v18 dst_sel:DWORD dst_unused:UNUSED_PAD src0_sel:WORD_1 src1_sel:DWORD
	v_fma_f16 v15, v38, v15, v18
	s_waitcnt vmcnt(8)
	v_mul_f16_sdwa v18, v53, v39 dst_sel:DWORD dst_unused:UNUSED_PAD src0_sel:DWORD src1_sel:WORD_1
	v_fma_f16 v18, v19, v39, -v18
	v_mul_f16_sdwa v19, v19, v39 dst_sel:DWORD dst_unused:UNUSED_PAD src0_sel:DWORD src1_sel:WORD_1
	v_fma_f16 v19, v53, v39, v19
	s_waitcnt vmcnt(7)
	v_mul_f16_sdwa v38, v55, v40 dst_sel:DWORD dst_unused:UNUSED_PAD src0_sel:DWORD src1_sel:WORD_1
	s_waitcnt vmcnt(6)
	v_mul_f16_sdwa v39, v57, v41 dst_sel:DWORD dst_unused:UNUSED_PAD src0_sel:DWORD src1_sel:WORD_1
	v_fma_f16 v38, v24, v40, -v38
	v_mul_f16_sdwa v24, v24, v40 dst_sel:DWORD dst_unused:UNUSED_PAD src0_sel:DWORD src1_sel:WORD_1
	v_fma_f16 v39, v25, v41, -v39
	v_mul_f16_sdwa v25, v25, v41 dst_sel:DWORD dst_unused:UNUSED_PAD src0_sel:DWORD src1_sel:WORD_1
	v_fma_f16 v24, v55, v40, v24
	v_fma_f16 v25, v57, v41, v25
	s_waitcnt vmcnt(5)
	v_mul_f16_sdwa v40, v59, v42 dst_sel:DWORD dst_unused:UNUSED_PAD src0_sel:DWORD src1_sel:WORD_1
	s_waitcnt vmcnt(4)
	v_mul_f16_sdwa v41, v61, v43 dst_sel:DWORD dst_unused:UNUSED_PAD src0_sel:DWORD src1_sel:WORD_1
	v_fma_f16 v40, v28, v42, -v40
	v_mul_f16_sdwa v28, v28, v42 dst_sel:DWORD dst_unused:UNUSED_PAD src0_sel:DWORD src1_sel:WORD_1
	v_fma_f16 v41, v29, v43, -v41
	v_mul_f16_sdwa v29, v29, v43 dst_sel:DWORD dst_unused:UNUSED_PAD src0_sel:DWORD src1_sel:WORD_1
	v_fma_f16 v28, v59, v42, v28
	;; [unrolled: 10-line block ×3, first 2 shown]
	v_fma_f16 v33, v65, v45, v33
	s_waitcnt vmcnt(1)
	v_mul_f16_sdwa v44, v67, v46 dst_sel:DWORD dst_unused:UNUSED_PAD src0_sel:DWORD src1_sel:WORD_1
	s_waitcnt vmcnt(0)
	v_mul_f16_sdwa v45, v69, v47 dst_sel:DWORD dst_unused:UNUSED_PAD src0_sel:DWORD src1_sel:WORD_1
	v_fma_f16 v44, v36, v46, -v44
	v_mul_f16_sdwa v36, v36, v46 dst_sel:DWORD dst_unused:UNUSED_PAD src0_sel:DWORD src1_sel:WORD_1
	v_fma_f16 v45, v37, v47, -v45
	v_mul_f16_sdwa v37, v37, v47 dst_sel:DWORD dst_unused:UNUSED_PAD src0_sel:DWORD src1_sel:WORD_1
	v_sub_f16_e32 v10, v49, v10
	v_fma_f16 v36, v67, v46, v36
	v_fma_f16 v37, v69, v47, v37
	v_sub_f16_e32 v46, v8, v71
	v_fma_f16 v47, v49, 2.0, -v10
	v_sub_f16_e32 v49, v9, v70
	v_sub_f16_e32 v11, v50, v11
	v_fma_f16 v8, v8, 2.0, -v46
	v_fma_f16 v9, v9, 2.0, -v49
	v_fma_f16 v50, v50, 2.0, -v11
	v_sub_f16_e32 v20, v0, v20
	v_sub_f16_e32 v15, v51, v15
	;; [unrolled: 1-line block ×4, first 2 shown]
	v_fma_f16 v0, v0, 2.0, -v20
	v_fma_f16 v51, v51, 2.0, -v15
	;; [unrolled: 1-line block ×4, first 2 shown]
	v_pack_b32_f16 v8, v8, v47
	v_pack_b32_f16 v9, v9, v50
	v_sub_f16_e32 v38, v22, v38
	v_sub_f16_e32 v24, v54, v24
	;; [unrolled: 1-line block ×4, first 2 shown]
	v_pack_b32_f16 v10, v46, v10
	ds_write2_b32 v48, v8, v9 offset1:52
	v_pack_b32_f16 v8, v49, v11
	v_pack_b32_f16 v0, v0, v51
	;; [unrolled: 1-line block ×3, first 2 shown]
	v_fma_f16 v22, v22, 2.0, -v38
	v_fma_f16 v53, v54, 2.0, -v24
	;; [unrolled: 1-line block ×4, first 2 shown]
	ds_write2_b32 v2, v10, v8 offset0:112 offset1:164
	v_pack_b32_f16 v8, v20, v15
	ds_write2_b32 v48, v0, v1 offset0:104 offset1:156
	v_pack_b32_f16 v0, v18, v19
	v_sub_f16_e32 v40, v26, v40
	v_sub_f16_e32 v28, v58, v28
	v_sub_f16_e32 v41, v27, v41
	v_sub_f16_e32 v29, v60, v29
	ds_write2_b32 v5, v8, v0 offset0:88 offset1:140
	v_pack_b32_f16 v0, v22, v53
	v_pack_b32_f16 v5, v23, v54
	v_fma_f16 v26, v26, 2.0, -v40
	v_fma_f16 v55, v58, 2.0, -v28
	v_fma_f16 v27, v27, 2.0, -v41
	v_fma_f16 v56, v60, 2.0, -v29
	v_pack_b32_f16 v1, v38, v24
	ds_write2_b32 v4, v0, v5 offset0:80 offset1:132
	v_pack_b32_f16 v0, v39, v25
	v_sub_f16_e32 v42, v30, v42
	v_sub_f16_e32 v32, v62, v32
	v_sub_f16_e32 v43, v31, v43
	v_sub_f16_e32 v33, v64, v33
	ds_write2_b32 v7, v1, v0 offset0:64 offset1:116
	v_pack_b32_f16 v0, v26, v55
	v_pack_b32_f16 v4, v27, v56
	v_fma_f16 v30, v30, 2.0, -v42
	v_fma_f16 v57, v62, 2.0, -v32
	v_fma_f16 v31, v31, 2.0, -v43
	v_fma_f16 v58, v64, 2.0, -v33
	v_pack_b32_f16 v1, v40, v28
	ds_write2_b32 v3, v0, v4 offset0:56 offset1:108
	v_pack_b32_f16 v0, v41, v29
	v_sub_f16_e32 v44, v34, v44
	v_sub_f16_e32 v36, v66, v36
	v_sub_f16_e32 v45, v35, v45
	v_sub_f16_e32 v37, v68, v37
	ds_write2_b32 v7, v1, v0 offset0:168 offset1:220
	v_pack_b32_f16 v0, v30, v57
	v_pack_b32_f16 v4, v31, v58
	v_fma_f16 v34, v34, 2.0, -v44
	v_fma_f16 v59, v66, 2.0, -v36
	v_fma_f16 v35, v35, 2.0, -v45
	v_fma_f16 v60, v68, 2.0, -v37
	v_pack_b32_f16 v1, v42, v32
	ds_write2_b32 v3, v0, v4 offset0:160 offset1:212
	v_pack_b32_f16 v0, v43, v33
	ds_write2_b32 v6, v1, v0 offset0:16 offset1:68
	v_pack_b32_f16 v0, v34, v59
	v_pack_b32_f16 v3, v35, v60
	;; [unrolled: 1-line block ×3, first 2 shown]
	ds_write2_b32 v2, v0, v3 offset0:8 offset1:60
	v_pack_b32_f16 v0, v45, v37
	ds_write2_b32 v6, v1, v0 offset0:120 offset1:172
	s_waitcnt lgkmcnt(0)
	; wave barrier
	s_waitcnt lgkmcnt(0)
	s_and_saveexec_b64 s[4:5], s[0:1]
	s_cbranch_execz .LBB0_25
; %bb.24:
	v_mul_lo_u32 v2, s3, v16
	v_mul_lo_u32 v3, s2, v17
	v_mad_u64_u32 v[0:1], s[0:1], s2, v16, 0
	v_mov_b32_e32 v5, s11
	v_lshl_add_u32 v4, v14, 2, 0
	v_add3_u32 v1, v1, v3, v2
	v_lshlrev_b64 v[0:1], 2, v[0:1]
	v_mov_b32_e32 v15, v21
	v_add_co_u32_e32 v6, vcc, s10, v0
	v_addc_co_u32_e32 v5, vcc, v5, v1, vcc
	v_lshlrev_b64 v[0:1], 2, v[12:13]
	ds_read2_b32 v[2:3], v4 offset1:52
	v_add_co_u32_e32 v6, vcc, v6, v0
	v_addc_co_u32_e32 v5, vcc, v5, v1, vcc
	v_lshlrev_b64 v[0:1], 2, v[14:15]
	v_add_u32_e32 v20, 52, v14
	v_add_co_u32_e32 v0, vcc, v6, v0
	v_addc_co_u32_e32 v1, vcc, v5, v1, vcc
	s_waitcnt lgkmcnt(0)
	global_store_dword v[0:1], v2, off
	v_lshlrev_b64 v[0:1], 2, v[20:21]
	v_add_u32_e32 v20, 0x68, v14
	v_add_co_u32_e32 v0, vcc, v6, v0
	v_addc_co_u32_e32 v1, vcc, v5, v1, vcc
	global_store_dword v[0:1], v3, off
	ds_read2_b32 v[0:1], v4 offset0:104 offset1:156
	v_lshlrev_b64 v[2:3], 2, v[20:21]
	v_add_u32_e32 v20, 0x9c, v14
	v_add_co_u32_e32 v2, vcc, v6, v2
	v_addc_co_u32_e32 v3, vcc, v5, v3, vcc
	s_waitcnt lgkmcnt(0)
	global_store_dword v[2:3], v0, off
	v_lshlrev_b64 v[2:3], 2, v[20:21]
	v_add_u32_e32 v0, 0x200, v4
	v_add_co_u32_e32 v2, vcc, v6, v2
	v_addc_co_u32_e32 v3, vcc, v5, v3, vcc
	global_store_dword v[2:3], v1, off
	v_add_u32_e32 v20, 0xd0, v14
	ds_read2_b32 v[0:1], v0 offset0:80 offset1:132
	v_lshlrev_b64 v[2:3], 2, v[20:21]
	v_add_u32_e32 v20, 0x104, v14
	v_add_co_u32_e32 v2, vcc, v6, v2
	v_addc_co_u32_e32 v3, vcc, v5, v3, vcc
	s_waitcnt lgkmcnt(0)
	global_store_dword v[2:3], v0, off
	v_lshlrev_b64 v[2:3], 2, v[20:21]
	v_add_u32_e32 v7, 0x400, v4
	v_add_co_u32_e32 v2, vcc, v6, v2
	v_addc_co_u32_e32 v3, vcc, v5, v3, vcc
	global_store_dword v[2:3], v1, off
	v_add_u32_e32 v20, 0x138, v14
	ds_read2_b32 v[0:1], v7 offset0:56 offset1:108
	v_lshlrev_b64 v[2:3], 2, v[20:21]
	v_add_u32_e32 v20, 0x16c, v14
	v_add_co_u32_e32 v2, vcc, v6, v2
	v_addc_co_u32_e32 v3, vcc, v5, v3, vcc
	s_waitcnt lgkmcnt(0)
	global_store_dword v[2:3], v0, off
	v_lshlrev_b64 v[2:3], 2, v[20:21]
	v_add_u32_e32 v20, 0x1a0, v14
	v_add_co_u32_e32 v2, vcc, v6, v2
	v_addc_co_u32_e32 v3, vcc, v5, v3, vcc
	global_store_dword v[2:3], v1, off
	ds_read2_b32 v[0:1], v7 offset0:160 offset1:212
	v_lshlrev_b64 v[2:3], 2, v[20:21]
	v_add_u32_e32 v20, 0x1d4, v14
	v_add_co_u32_e32 v2, vcc, v6, v2
	v_addc_co_u32_e32 v3, vcc, v5, v3, vcc
	s_waitcnt lgkmcnt(0)
	global_store_dword v[2:3], v0, off
	v_lshlrev_b64 v[2:3], 2, v[20:21]
	v_add_u32_e32 v7, 0x800, v4
	v_add_co_u32_e32 v2, vcc, v6, v2
	v_addc_co_u32_e32 v3, vcc, v5, v3, vcc
	global_store_dword v[2:3], v1, off
	v_add_u32_e32 v20, 0x208, v14
	ds_read2_b32 v[0:1], v7 offset0:8 offset1:60
	v_lshlrev_b64 v[2:3], 2, v[20:21]
	v_add_u32_e32 v20, 0x23c, v14
	v_add_co_u32_e32 v2, vcc, v6, v2
	v_addc_co_u32_e32 v3, vcc, v5, v3, vcc
	s_waitcnt lgkmcnt(0)
	global_store_dword v[2:3], v0, off
	v_lshlrev_b64 v[2:3], 2, v[20:21]
	v_add_u32_e32 v20, 0x270, v14
	v_add_co_u32_e32 v2, vcc, v6, v2
	v_addc_co_u32_e32 v3, vcc, v5, v3, vcc
	global_store_dword v[2:3], v1, off
	;; [unrolled: 25-line block ×3, first 2 shown]
	v_add_u32_e32 v20, 0x340, v14
	ds_read2_b32 v[0:1], v7 offset0:64 offset1:116
	v_lshlrev_b64 v[2:3], 2, v[20:21]
	v_add_u32_e32 v20, 0x374, v14
	v_add_co_u32_e32 v2, vcc, v6, v2
	v_addc_co_u32_e32 v3, vcc, v5, v3, vcc
	s_waitcnt lgkmcnt(0)
	global_store_dword v[2:3], v0, off
	v_lshlrev_b64 v[2:3], 2, v[20:21]
	v_add_u32_e32 v20, 0x3a8, v14
	v_add_co_u32_e32 v2, vcc, v6, v2
	v_addc_co_u32_e32 v3, vcc, v5, v3, vcc
	global_store_dword v[2:3], v1, off
	ds_read2_b32 v[0:1], v7 offset0:168 offset1:220
	v_lshlrev_b64 v[2:3], 2, v[20:21]
	v_add_u32_e32 v20, 0x3dc, v14
	v_add_co_u32_e32 v2, vcc, v6, v2
	v_addc_co_u32_e32 v3, vcc, v5, v3, vcc
	s_waitcnt lgkmcnt(0)
	global_store_dword v[2:3], v0, off
	v_lshlrev_b64 v[2:3], 2, v[20:21]
	v_add_u32_e32 v4, 0x1000, v4
	v_add_co_u32_e32 v2, vcc, v6, v2
	v_addc_co_u32_e32 v3, vcc, v5, v3, vcc
	global_store_dword v[2:3], v1, off
	v_add_u32_e32 v20, 0x410, v14
	ds_read2_b32 v[0:1], v4 offset0:16 offset1:68
	v_lshlrev_b64 v[2:3], 2, v[20:21]
	v_add_u32_e32 v20, 0x444, v14
	v_add_co_u32_e32 v2, vcc, v6, v2
	v_addc_co_u32_e32 v3, vcc, v5, v3, vcc
	s_waitcnt lgkmcnt(0)
	global_store_dword v[2:3], v0, off
	v_lshlrev_b64 v[2:3], 2, v[20:21]
	v_add_u32_e32 v20, 0x478, v14
	v_add_co_u32_e32 v2, vcc, v6, v2
	v_addc_co_u32_e32 v3, vcc, v5, v3, vcc
	global_store_dword v[2:3], v1, off
	ds_read2_b32 v[0:1], v4 offset0:120 offset1:172
	v_lshlrev_b64 v[2:3], 2, v[20:21]
	v_add_u32_e32 v20, 0x4ac, v14
	v_add_co_u32_e32 v2, vcc, v6, v2
	v_addc_co_u32_e32 v3, vcc, v5, v3, vcc
	s_waitcnt lgkmcnt(0)
	global_store_dword v[2:3], v0, off
	v_lshlrev_b64 v[2:3], 2, v[20:21]
	v_add_co_u32_e32 v2, vcc, v6, v2
	v_addc_co_u32_e32 v3, vcc, v5, v3, vcc
	global_store_dword v[2:3], v1, off
.LBB0_25:
	s_endpgm
	.section	.rodata,"a",@progbits
	.p2align	6, 0x0
	.amdhsa_kernel fft_rtc_fwd_len1248_factors_2_2_13_2_3_2_2_wgs_52_tpt_52_halfLds_half_op_CI_CI_unitstride_sbrr_C2R_dirReg
		.amdhsa_group_segment_fixed_size 0
		.amdhsa_private_segment_fixed_size 0
		.amdhsa_kernarg_size 104
		.amdhsa_user_sgpr_count 6
		.amdhsa_user_sgpr_private_segment_buffer 1
		.amdhsa_user_sgpr_dispatch_ptr 0
		.amdhsa_user_sgpr_queue_ptr 0
		.amdhsa_user_sgpr_kernarg_segment_ptr 1
		.amdhsa_user_sgpr_dispatch_id 0
		.amdhsa_user_sgpr_flat_scratch_init 0
		.amdhsa_user_sgpr_private_segment_size 0
		.amdhsa_uses_dynamic_stack 0
		.amdhsa_system_sgpr_private_segment_wavefront_offset 0
		.amdhsa_system_sgpr_workgroup_id_x 1
		.amdhsa_system_sgpr_workgroup_id_y 0
		.amdhsa_system_sgpr_workgroup_id_z 0
		.amdhsa_system_sgpr_workgroup_info 0
		.amdhsa_system_vgpr_workitem_id 0
		.amdhsa_next_free_vgpr 131
		.amdhsa_next_free_sgpr 28
		.amdhsa_reserve_vcc 1
		.amdhsa_reserve_flat_scratch 0
		.amdhsa_float_round_mode_32 0
		.amdhsa_float_round_mode_16_64 0
		.amdhsa_float_denorm_mode_32 3
		.amdhsa_float_denorm_mode_16_64 3
		.amdhsa_dx10_clamp 1
		.amdhsa_ieee_mode 1
		.amdhsa_fp16_overflow 0
		.amdhsa_exception_fp_ieee_invalid_op 0
		.amdhsa_exception_fp_denorm_src 0
		.amdhsa_exception_fp_ieee_div_zero 0
		.amdhsa_exception_fp_ieee_overflow 0
		.amdhsa_exception_fp_ieee_underflow 0
		.amdhsa_exception_fp_ieee_inexact 0
		.amdhsa_exception_int_div_zero 0
	.end_amdhsa_kernel
	.text
.Lfunc_end0:
	.size	fft_rtc_fwd_len1248_factors_2_2_13_2_3_2_2_wgs_52_tpt_52_halfLds_half_op_CI_CI_unitstride_sbrr_C2R_dirReg, .Lfunc_end0-fft_rtc_fwd_len1248_factors_2_2_13_2_3_2_2_wgs_52_tpt_52_halfLds_half_op_CI_CI_unitstride_sbrr_C2R_dirReg
                                        ; -- End function
	.section	.AMDGPU.csdata,"",@progbits
; Kernel info:
; codeLenInByte = 19196
; NumSgprs: 32
; NumVgprs: 131
; ScratchSize: 0
; MemoryBound: 0
; FloatMode: 240
; IeeeMode: 1
; LDSByteSize: 0 bytes/workgroup (compile time only)
; SGPRBlocks: 3
; VGPRBlocks: 32
; NumSGPRsForWavesPerEU: 32
; NumVGPRsForWavesPerEU: 131
; Occupancy: 1
; WaveLimiterHint : 1
; COMPUTE_PGM_RSRC2:SCRATCH_EN: 0
; COMPUTE_PGM_RSRC2:USER_SGPR: 6
; COMPUTE_PGM_RSRC2:TRAP_HANDLER: 0
; COMPUTE_PGM_RSRC2:TGID_X_EN: 1
; COMPUTE_PGM_RSRC2:TGID_Y_EN: 0
; COMPUTE_PGM_RSRC2:TGID_Z_EN: 0
; COMPUTE_PGM_RSRC2:TIDIG_COMP_CNT: 0
	.type	__hip_cuid_7140deb64e097d30,@object ; @__hip_cuid_7140deb64e097d30
	.section	.bss,"aw",@nobits
	.globl	__hip_cuid_7140deb64e097d30
__hip_cuid_7140deb64e097d30:
	.byte	0                               ; 0x0
	.size	__hip_cuid_7140deb64e097d30, 1

	.ident	"AMD clang version 19.0.0git (https://github.com/RadeonOpenCompute/llvm-project roc-6.4.0 25133 c7fe45cf4b819c5991fe208aaa96edf142730f1d)"
	.section	".note.GNU-stack","",@progbits
	.addrsig
	.addrsig_sym __hip_cuid_7140deb64e097d30
	.amdgpu_metadata
---
amdhsa.kernels:
  - .args:
      - .actual_access:  read_only
        .address_space:  global
        .offset:         0
        .size:           8
        .value_kind:     global_buffer
      - .offset:         8
        .size:           8
        .value_kind:     by_value
      - .actual_access:  read_only
        .address_space:  global
        .offset:         16
        .size:           8
        .value_kind:     global_buffer
      - .actual_access:  read_only
        .address_space:  global
        .offset:         24
        .size:           8
        .value_kind:     global_buffer
      - .actual_access:  read_only
        .address_space:  global
        .offset:         32
        .size:           8
        .value_kind:     global_buffer
      - .offset:         40
        .size:           8
        .value_kind:     by_value
      - .actual_access:  read_only
        .address_space:  global
        .offset:         48
        .size:           8
        .value_kind:     global_buffer
      - .actual_access:  read_only
        .address_space:  global
        .offset:         56
        .size:           8
        .value_kind:     global_buffer
      - .offset:         64
        .size:           4
        .value_kind:     by_value
      - .actual_access:  read_only
        .address_space:  global
        .offset:         72
        .size:           8
        .value_kind:     global_buffer
      - .actual_access:  read_only
        .address_space:  global
        .offset:         80
        .size:           8
        .value_kind:     global_buffer
      - .actual_access:  read_only
        .address_space:  global
        .offset:         88
        .size:           8
        .value_kind:     global_buffer
      - .actual_access:  write_only
        .address_space:  global
        .offset:         96
        .size:           8
        .value_kind:     global_buffer
    .group_segment_fixed_size: 0
    .kernarg_segment_align: 8
    .kernarg_segment_size: 104
    .language:       OpenCL C
    .language_version:
      - 2
      - 0
    .max_flat_workgroup_size: 52
    .name:           fft_rtc_fwd_len1248_factors_2_2_13_2_3_2_2_wgs_52_tpt_52_halfLds_half_op_CI_CI_unitstride_sbrr_C2R_dirReg
    .private_segment_fixed_size: 0
    .sgpr_count:     32
    .sgpr_spill_count: 0
    .symbol:         fft_rtc_fwd_len1248_factors_2_2_13_2_3_2_2_wgs_52_tpt_52_halfLds_half_op_CI_CI_unitstride_sbrr_C2R_dirReg.kd
    .uniform_work_group_size: 1
    .uses_dynamic_stack: false
    .vgpr_count:     131
    .vgpr_spill_count: 0
    .wavefront_size: 64
amdhsa.target:   amdgcn-amd-amdhsa--gfx906
amdhsa.version:
  - 1
  - 2
...

	.end_amdgpu_metadata
